;; amdgpu-corpus repo=ROCm/rocSOLVER kind=compiled arch=gfx90a opt=O3
	.text
	.amdgcn_target "amdgcn-amd-amdhsa--gfx90a"
	.amdhsa_code_object_version 6
	.section	.text._ZN9rocsolver6v33100L10reset_infoIiiiEEvPT_T0_T1_S4_,"axG",@progbits,_ZN9rocsolver6v33100L10reset_infoIiiiEEvPT_T0_T1_S4_,comdat
	.globl	_ZN9rocsolver6v33100L10reset_infoIiiiEEvPT_T0_T1_S4_ ; -- Begin function _ZN9rocsolver6v33100L10reset_infoIiiiEEvPT_T0_T1_S4_
	.p2align	8
	.type	_ZN9rocsolver6v33100L10reset_infoIiiiEEvPT_T0_T1_S4_,@function
_ZN9rocsolver6v33100L10reset_infoIiiiEEvPT_T0_T1_S4_: ; @_ZN9rocsolver6v33100L10reset_infoIiiiEEvPT_T0_T1_S4_
; %bb.0:
	s_load_dword s7, s[4:5], 0x24
	s_load_dwordx4 s[0:3], s[4:5], 0x8
	s_waitcnt lgkmcnt(0)
	s_and_b32 s3, s7, 0xffff
	s_mul_i32 s6, s6, s3
	v_add_u32_e32 v0, s6, v0
	v_cmp_gt_i32_e32 vcc, s0, v0
	s_and_saveexec_b64 s[6:7], vcc
	s_cbranch_execz .LBB0_2
; %bb.1:
	s_load_dwordx2 s[4:5], s[4:5], 0x0
	v_ashrrev_i32_e32 v1, 31, v0
	v_lshlrev_b64 v[2:3], 2, v[0:1]
	v_mul_lo_u32 v0, v0, s2
	v_add_u32_e32 v0, s1, v0
	s_waitcnt lgkmcnt(0)
	v_mov_b32_e32 v1, s5
	v_add_co_u32_e32 v2, vcc, s4, v2
	v_addc_co_u32_e32 v3, vcc, v1, v3, vcc
	global_store_dword v[2:3], v0, off
.LBB0_2:
	s_endpgm
	.section	.rodata,"a",@progbits
	.p2align	6, 0x0
	.amdhsa_kernel _ZN9rocsolver6v33100L10reset_infoIiiiEEvPT_T0_T1_S4_
		.amdhsa_group_segment_fixed_size 0
		.amdhsa_private_segment_fixed_size 0
		.amdhsa_kernarg_size 280
		.amdhsa_user_sgpr_count 6
		.amdhsa_user_sgpr_private_segment_buffer 1
		.amdhsa_user_sgpr_dispatch_ptr 0
		.amdhsa_user_sgpr_queue_ptr 0
		.amdhsa_user_sgpr_kernarg_segment_ptr 1
		.amdhsa_user_sgpr_dispatch_id 0
		.amdhsa_user_sgpr_flat_scratch_init 0
		.amdhsa_user_sgpr_kernarg_preload_length 0
		.amdhsa_user_sgpr_kernarg_preload_offset 0
		.amdhsa_user_sgpr_private_segment_size 0
		.amdhsa_uses_dynamic_stack 0
		.amdhsa_system_sgpr_private_segment_wavefront_offset 0
		.amdhsa_system_sgpr_workgroup_id_x 1
		.amdhsa_system_sgpr_workgroup_id_y 0
		.amdhsa_system_sgpr_workgroup_id_z 0
		.amdhsa_system_sgpr_workgroup_info 0
		.amdhsa_system_vgpr_workitem_id 0
		.amdhsa_next_free_vgpr 4
		.amdhsa_next_free_sgpr 8
		.amdhsa_accum_offset 4
		.amdhsa_reserve_vcc 1
		.amdhsa_reserve_flat_scratch 0
		.amdhsa_float_round_mode_32 0
		.amdhsa_float_round_mode_16_64 0
		.amdhsa_float_denorm_mode_32 3
		.amdhsa_float_denorm_mode_16_64 3
		.amdhsa_dx10_clamp 1
		.amdhsa_ieee_mode 1
		.amdhsa_fp16_overflow 0
		.amdhsa_tg_split 0
		.amdhsa_exception_fp_ieee_invalid_op 0
		.amdhsa_exception_fp_denorm_src 0
		.amdhsa_exception_fp_ieee_div_zero 0
		.amdhsa_exception_fp_ieee_overflow 0
		.amdhsa_exception_fp_ieee_underflow 0
		.amdhsa_exception_fp_ieee_inexact 0
		.amdhsa_exception_int_div_zero 0
	.end_amdhsa_kernel
	.section	.text._ZN9rocsolver6v33100L10reset_infoIiiiEEvPT_T0_T1_S4_,"axG",@progbits,_ZN9rocsolver6v33100L10reset_infoIiiiEEvPT_T0_T1_S4_,comdat
.Lfunc_end0:
	.size	_ZN9rocsolver6v33100L10reset_infoIiiiEEvPT_T0_T1_S4_, .Lfunc_end0-_ZN9rocsolver6v33100L10reset_infoIiiiEEvPT_T0_T1_S4_
                                        ; -- End function
	.section	.AMDGPU.csdata,"",@progbits
; Kernel info:
; codeLenInByte = 108
; NumSgprs: 12
; NumVgprs: 4
; NumAgprs: 0
; TotalNumVgprs: 4
; ScratchSize: 0
; MemoryBound: 0
; FloatMode: 240
; IeeeMode: 1
; LDSByteSize: 0 bytes/workgroup (compile time only)
; SGPRBlocks: 1
; VGPRBlocks: 0
; NumSGPRsForWavesPerEU: 12
; NumVGPRsForWavesPerEU: 4
; AccumOffset: 4
; Occupancy: 8
; WaveLimiterHint : 0
; COMPUTE_PGM_RSRC2:SCRATCH_EN: 0
; COMPUTE_PGM_RSRC2:USER_SGPR: 6
; COMPUTE_PGM_RSRC2:TRAP_HANDLER: 0
; COMPUTE_PGM_RSRC2:TGID_X_EN: 1
; COMPUTE_PGM_RSRC2:TGID_Y_EN: 0
; COMPUTE_PGM_RSRC2:TGID_Z_EN: 0
; COMPUTE_PGM_RSRC2:TIDIG_COMP_CNT: 0
; COMPUTE_PGM_RSRC3_GFX90A:ACCUM_OFFSET: 0
; COMPUTE_PGM_RSRC3_GFX90A:TG_SPLIT: 0
	.section	.text._ZN9rocsolver6v33100L12sterf_kernelIfEEviPT_lS3_lPiS4_iS2_S2_S2_,"axG",@progbits,_ZN9rocsolver6v33100L12sterf_kernelIfEEviPT_lS3_lPiS4_iS2_S2_S2_,comdat
	.globl	_ZN9rocsolver6v33100L12sterf_kernelIfEEviPT_lS3_lPiS4_iS2_S2_S2_ ; -- Begin function _ZN9rocsolver6v33100L12sterf_kernelIfEEviPT_lS3_lPiS4_iS2_S2_S2_
	.p2align	8
	.type	_ZN9rocsolver6v33100L12sterf_kernelIfEEviPT_lS3_lPiS4_iS2_S2_S2_,@function
_ZN9rocsolver6v33100L12sterf_kernelIfEEviPT_lS3_lPiS4_iS2_S2_S2_: ; @_ZN9rocsolver6v33100L12sterf_kernelIfEEviPT_lS3_lPiS4_iS2_S2_S2_
; %bb.0:
	s_load_dwordx8 s[12:19], s[4:5], 0x8
	s_load_dword s33, s[4:5], 0x0
	s_load_dwordx4 s[20:23], s[4:5], 0x38
	s_ashr_i32 s7, s6, 31
	s_waitcnt lgkmcnt(0)
	s_mul_i32 s0, s6, s15
	s_mul_hi_u32 s1, s6, s14
	s_add_i32 s0, s1, s0
	s_mul_i32 s1, s7, s14
	s_add_i32 s1, s0, s1
	s_mul_i32 s0, s6, s14
	s_lshl_b64 s[10:11], s[0:1], 2
	s_add_u32 s54, s12, s10
	s_mul_i32 s0, s6, s19
	s_mul_hi_u32 s1, s6, s18
	s_addc_u32 s55, s13, s11
	s_add_i32 s0, s1, s0
	s_mul_i32 s1, s7, s18
	s_add_i32 s1, s0, s1
	s_mul_i32 s0, s6, s18
	s_lshl_b64 s[0:1], s[0:1], 2
	s_add_u32 s14, s16, s0
	s_addc_u32 s15, s17, s1
	s_min_i32 s2, s33, s20
	s_cmp_lt_i32 s2, 1
	s_cbranch_scc1 .LBB1_158
; %bb.1:
	s_add_i32 s56, s33, -1
	s_add_u32 s57, s14, -4
	s_addc_u32 s58, s15, -1
	s_add_u32 s59, s54, -4
	s_addc_u32 s60, s55, -1
	s_add_u32 s61, s16, s0
	s_addc_u32 s62, s17, s1
	s_add_u32 s63, s61, -4
	s_addc_u32 s64, s62, -1
	s_add_u32 s65, s12, s10
	s_addc_u32 s66, s13, s11
	s_add_u32 s67, s65, 4
	s_addc_u32 s68, s66, 0
	s_add_u32 s69, s61, 4
	s_mov_b32 s18, 0x667f3bcd
	s_mov_b32 s24, 0.5
	v_mul_f32_e64 v1, s21, s21
	s_addc_u32 s70, s62, 0
	s_mov_b32 s17, 0
	v_mov_b32_e32 v4, 0
	s_mov_b32 s71, 0xf800000
	s_mov_b32 s72, 0x4f800000
	v_mov_b32_e32 v5, 0x260
	s_mov_b32 s19, 0x3ff6a09e
	s_mov_b32 s25, -0.5
	s_mov_b32 s73, 0
	s_mov_b32 s74, 0
	s_branch .LBB1_4
.LBB1_2:                                ;   in Loop: Header=BB1_4 Depth=1
	s_cmp_ge_i32 s41, s20
	s_cselect_b64 s[0:1], -1, 0
	s_cmp_ge_i32 s73, s33
	s_cselect_b64 s[2:3], -1, 0
	s_or_b64 s[2:3], s[2:3], s[0:1]
.LBB1_3:                                ;   in Loop: Header=BB1_4 Depth=1
	s_and_b64 vcc, exec, s[2:3]
	s_mov_b32 s74, s41
	s_cbranch_vccnz .LBB1_158
.LBB1_4:                                ; =>This Loop Header: Depth=1
                                        ;     Child Loop BB1_6 Depth 2
                                        ;       Child Loop BB1_12 Depth 3
                                        ;       Child Loop BB1_19 Depth 3
                                        ;     Child Loop BB1_36 Depth 2
                                        ;     Child Loop BB1_30 Depth 2
	;; [unrolled: 1-line block ×5, first 2 shown]
                                        ;       Child Loop BB1_57 Depth 3
                                        ;       Child Loop BB1_69 Depth 3
                                        ;     Child Loop BB1_103 Depth 2
                                        ;       Child Loop BB1_105 Depth 3
                                        ;       Child Loop BB1_118 Depth 3
                                        ;     Child Loop BB1_153 Depth 2
                                        ;     Child Loop BB1_157 Depth 2
	s_mov_b32 s16, s73
	s_branch .LBB1_6
.LBB1_5:                                ;   in Loop: Header=BB1_6 Depth=2
	s_andn2_b64 vcc, exec, s[2:3]
	s_mov_b32 s16, s73
	s_cbranch_vccz .LBB1_25
.LBB1_6:                                ;   Parent Loop BB1_4 Depth=1
                                        ; =>  This Loop Header: Depth=2
                                        ;       Child Loop BB1_12 Depth 3
                                        ;       Child Loop BB1_19 Depth 3
	s_cmp_gt_i32 s16, 0
	s_mov_b64 s[0:1], -1
                                        ; implicit-def: $sgpr8_sgpr9
	s_cbranch_scc1 .LBB1_8
; %bb.7:                                ;   in Loop: Header=BB1_6 Depth=2
	s_mov_b64 s[0:1], 0
	s_mov_b64 s[8:9], s[16:17]
.LBB1_8:                                ;   in Loop: Header=BB1_6 Depth=2
	s_andn2_b64 vcc, exec, s[0:1]
	s_cbranch_vccnz .LBB1_10
; %bb.9:                                ;   in Loop: Header=BB1_6 Depth=2
	s_lshl_b64 s[0:1], s[16:17], 2
	s_add_u32 s0, s57, s0
	s_addc_u32 s1, s58, s1
	s_mov_b64 s[8:9], s[16:17]
	global_store_dword v4, v4, s[0:1]
.LBB1_10:                               ;   in Loop: Header=BB1_6 Depth=2
	s_lshl_b64 s[28:29], s[8:9], 2
	s_add_u32 s0, s63, s28
	s_addc_u32 s1, s64, s29
	s_add_u32 s30, s67, s28
	s_addc_u32 s31, s68, s29
	s_mov_b32 s73, s16
	s_branch .LBB1_12
.LBB1_11:                               ;   in Loop: Header=BB1_12 Depth=3
	s_andn2_b64 vcc, exec, s[2:3]
	s_cbranch_vccz .LBB1_14
.LBB1_12:                               ;   Parent Loop BB1_4 Depth=1
                                        ;     Parent Loop BB1_6 Depth=2
                                        ; =>    This Inner Loop Header: Depth=3
	s_mov_b64 s[36:37], -1
	s_mov_b32 s26, s73
	s_cmp_ge_i32 s73, s56
	s_mov_b64 s[2:3], -1
                                        ; implicit-def: $sgpr73
                                        ; implicit-def: $sgpr34_sgpr35
	s_cbranch_scc1 .LBB1_11
; %bb.13:                               ;   in Loop: Header=BB1_12 Depth=3
	global_load_dwordx2 v[2:3], v4, s[30:31] offset:-4
	global_load_dword v0, v4, s[0:1] offset:4
	s_add_u32 s34, s0, 4
	s_addc_u32 s35, s1, 0
	s_add_i32 s73, s26, 1
	s_add_u32 s30, s30, 4
	s_mov_b64 s[36:37], 0
	s_addc_u32 s31, s31, 0
	s_waitcnt vmcnt(1)
	v_mul_f32_e64 v6, |v2|, s72
	v_cmp_lt_f32_e64 vcc, |v2|, s71
	v_mul_f32_e64 v7, |v3|, s72
	v_cndmask_b32_e64 v2, |v2|, v6, vcc
	v_cmp_lt_f32_e64 s[0:1], |v3|, s71
	v_sqrt_f32_e32 v6, v2
	v_cndmask_b32_e64 v3, |v3|, v7, s[0:1]
	v_sqrt_f32_e32 v7, v3
	v_add_u32_e32 v8, -1, v6
	v_fma_f32 v12, -v8, v6, v2
	v_add_u32_e32 v10, -1, v7
	v_add_u32_e32 v9, 1, v6
	v_fma_f32 v14, -v10, v7, v3
	v_cmp_ge_f32_e64 s[2:3], 0, v12
	v_add_u32_e32 v11, 1, v7
	v_fma_f32 v13, -v9, v6, v2
	v_cndmask_b32_e64 v6, v6, v8, s[2:3]
	v_cmp_ge_f32_e64 s[2:3], 0, v14
	v_fma_f32 v15, -v11, v7, v3
	v_cndmask_b32_e64 v7, v7, v10, s[2:3]
	v_cmp_lt_f32_e64 s[2:3], 0, v13
	v_cndmask_b32_e64 v6, v6, v9, s[2:3]
	v_cmp_lt_f32_e64 s[2:3], 0, v15
	v_cndmask_b32_e64 v7, v7, v11, s[2:3]
	v_mul_f32_e32 v8, 0x37800000, v6
	v_mul_f32_e32 v9, 0x37800000, v7
	v_cndmask_b32_e32 v6, v6, v8, vcc
	v_cmp_class_f32_e32 vcc, v2, v5
	v_cndmask_b32_e64 v7, v7, v9, s[0:1]
	v_cndmask_b32_e32 v2, v6, v2, vcc
	v_cmp_class_f32_e32 vcc, v3, v5
	v_cndmask_b32_e32 v3, v7, v3, vcc
	v_mul_f32_e32 v2, v2, v3
	v_mul_f32_e32 v2, s21, v2
	s_waitcnt vmcnt(0)
	v_cmp_le_f32_e64 s[2:3], |v0|, v2
	s_mov_b64 s[0:1], s[34:35]
	s_branch .LBB1_11
.LBB1_14:                               ;   in Loop: Header=BB1_6 Depth=2
	s_andn2_b64 vcc, exec, s[36:37]
	s_mov_b64 s[0:1], -1
	s_cbranch_vccnz .LBB1_21
; %bb.15:                               ;   in Loop: Header=BB1_6 Depth=2
	s_andn2_b64 vcc, exec, s[0:1]
	s_cbranch_vccz .LBB1_22
.LBB1_16:                               ;   in Loop: Header=BB1_6 Depth=2
	s_cmp_lg_u32 s26, s16
	s_mov_b64 s[2:3], -1
	s_cbranch_scc0 .LBB1_23
.LBB1_17:                               ;   in Loop: Header=BB1_6 Depth=2
	s_mov_b32 s27, s17
	s_lshl_b64 s[0:1], s[26:27], 2
	s_add_u32 s30, s54, s0
	s_addc_u32 s31, s55, s1
	global_load_dword v0, v4, s[30:31]
	s_cmp_lt_i32 s16, s26
	s_cselect_b64 s[0:1], -1, 0
	s_cmp_ge_i32 s16, s26
	s_waitcnt vmcnt(0)
	v_and_b32_e32 v6, 0x7fffffff, v0
	s_cbranch_scc1 .LBB1_20
; %bb.18:                               ;   in Loop: Header=BB1_6 Depth=2
	s_add_u32 s34, s65, s28
	s_addc_u32 s35, s66, s29
	s_add_u32 s36, s61, s28
	s_addc_u32 s37, s62, s29
	s_mov_b32 s27, s16
.LBB1_19:                               ;   Parent Loop BB1_4 Depth=1
                                        ;     Parent Loop BB1_6 Depth=2
                                        ; =>    This Inner Loop Header: Depth=3
	global_load_dword v2, v4, s[34:35]
	global_load_dword v3, v4, s[36:37]
	s_add_i32 s27, s27, 1
	s_add_u32 s34, s34, 4
	s_addc_u32 s35, s35, 0
	s_add_u32 s36, s36, 4
	s_addc_u32 s37, s37, 0
	s_cmp_lt_i32 s27, s26
	s_waitcnt vmcnt(0)
	v_max3_f32 v6, v6, |v2|, |v3|
	s_cbranch_scc1 .LBB1_19
.LBB1_20:                               ;   in Loop: Header=BB1_6 Depth=2
	v_cmp_eq_f32_e64 s[36:37], 0, v6
	s_mov_b64 s[34:35], -1
	s_and_b64 vcc, exec, s[36:37]
	s_mov_b32 s27, s16
	s_cbranch_vccz .LBB1_5
	s_branch .LBB1_24
.LBB1_21:                               ;   in Loop: Header=BB1_6 Depth=2
	global_store_dword v4, v4, s[34:35]
	s_cbranch_execnz .LBB1_16
.LBB1_22:                               ;   in Loop: Header=BB1_6 Depth=2
	s_max_i32 s26, s16, s56
	s_add_i32 s73, s26, 1
	s_cmp_lg_u32 s26, s16
	s_mov_b64 s[2:3], -1
	s_cbranch_scc1 .LBB1_17
.LBB1_23:                               ;   in Loop: Header=BB1_6 Depth=2
                                        ; implicit-def: $sgpr34_sgpr35
                                        ; implicit-def: $sgpr30_sgpr31
                                        ; implicit-def: $vgpr0
                                        ; implicit-def: $sgpr0_sgpr1
                                        ; implicit-def: $vgpr6
	s_mov_b32 s27, s16
	s_cbranch_execz .LBB1_5
.LBB1_24:                               ;   in Loop: Header=BB1_6 Depth=2
	s_cmp_ge_i32 s73, s33
	s_mov_b64 s[34:35], 0
	s_cselect_b64 s[2:3], -1, 0
	s_mov_b32 s27, s16
	s_branch .LBB1_5
.LBB1_25:                               ;   in Loop: Header=BB1_4 Depth=1
	s_mov_b64 s[2:3], -1
	s_and_b64 vcc, exec, s[34:35]
                                        ; implicit-def: $sgpr41
	s_cbranch_vccz .LBB1_3
; %bb.26:                               ;   in Loop: Header=BB1_4 Depth=1
	v_cmp_nlt_f32_e32 vcc, s23, v6
	s_cbranch_vccz .LBB1_32
; %bb.27:                               ;   in Loop: Header=BB1_4 Depth=1
	v_cmp_gt_f32_e32 vcc, s22, v6
	s_cbranch_vccz .LBB1_33
; %bb.28:                               ;   in Loop: Header=BB1_4 Depth=1
	s_waitcnt vmcnt(0)
	v_div_scale_f32 v2, s[2:3], s22, s22, v6
	v_rcp_f32_e32 v3, v2
	v_div_scale_f32 v7, vcc, v6, s22, v6
	s_mov_b64 s[2:3], 0
	v_fma_f32 v8, -v2, v3, 1.0
	v_fmac_f32_e32 v3, v8, v3
	v_mul_f32_e32 v8, v7, v3
	v_fma_f32 v9, -v2, v8, v7
	v_fmac_f32_e32 v8, v9, v3
	v_fma_f32 v2, -v2, v8, v7
	v_div_fmas_f32 v2, v2, v3, v8
	v_div_fixup_f32 v2, v2, s22, v6
	v_mul_f32_e32 v3, v0, v2
	s_and_b64 vcc, exec, s[0:1]
	global_store_dword v4, v3, s[30:31]
	s_cbranch_vccz .LBB1_33
; %bb.29:                               ;   in Loop: Header=BB1_4 Depth=1
	s_add_u32 s2, s65, s28
	s_addc_u32 s3, s66, s29
	s_add_u32 s34, s61, s28
	s_addc_u32 s35, s62, s29
	s_mov_b32 s16, s27
.LBB1_30:                               ;   Parent Loop BB1_4 Depth=1
                                        ; =>  This Inner Loop Header: Depth=2
	global_load_dword v3, v4, s[2:3]
	s_add_i32 s16, s16, 1
	s_waitcnt vmcnt(0)
	v_mul_f32_e32 v3, v2, v3
	global_store_dword v4, v3, s[2:3]
	global_load_dword v3, v4, s[34:35]
	s_add_u32 s2, s2, 4
	s_addc_u32 s3, s3, 0
	s_waitcnt vmcnt(0)
	v_mul_f32_e32 v3, v2, v3
	global_store_dword v4, v3, s[34:35]
	s_add_u32 s34, s34, 4
	s_addc_u32 s35, s35, 0
	s_cmp_lt_i32 s16, s26
	s_cbranch_scc1 .LBB1_30
; %bb.31:                               ;   in Loop: Header=BB1_4 Depth=1
	s_mov_b64 s[2:3], -1
	s_branch .LBB1_38
.LBB1_32:                               ;   in Loop: Header=BB1_4 Depth=1
	s_mov_b64 s[2:3], 0
	s_cbranch_execnz .LBB1_34
	s_branch .LBB1_38
.LBB1_33:                               ;   in Loop: Header=BB1_4 Depth=1
	s_branch .LBB1_38
.LBB1_34:                               ;   in Loop: Header=BB1_4 Depth=1
	s_waitcnt vmcnt(0)
	v_div_scale_f32 v2, s[34:35], s23, s23, v6
	v_rcp_f32_e32 v3, v2
	v_div_scale_f32 v7, vcc, v6, s23, v6
	v_fma_f32 v8, -v2, v3, 1.0
	v_fmac_f32_e32 v3, v8, v3
	v_mul_f32_e32 v8, v7, v3
	v_fma_f32 v9, -v2, v8, v7
	v_fmac_f32_e32 v8, v9, v3
	v_fma_f32 v2, -v2, v8, v7
	v_div_fmas_f32 v2, v2, v3, v8
	v_div_fixup_f32 v2, v2, s23, v6
	v_mul_f32_e32 v0, v0, v2
	s_and_b64 vcc, exec, s[0:1]
	global_store_dword v4, v0, s[30:31]
	s_cbranch_vccz .LBB1_38
; %bb.35:                               ;   in Loop: Header=BB1_4 Depth=1
	s_add_u32 s2, s65, s28
	s_addc_u32 s3, s66, s29
	s_add_u32 s34, s61, s28
	s_addc_u32 s35, s62, s29
	s_mov_b32 s16, s27
.LBB1_36:                               ;   Parent Loop BB1_4 Depth=1
                                        ; =>  This Inner Loop Header: Depth=2
	global_load_dword v0, v4, s[2:3]
	s_add_i32 s16, s16, 1
	s_waitcnt vmcnt(0)
	v_mul_f32_e32 v0, v2, v0
	global_store_dword v4, v0, s[2:3]
	global_load_dword v0, v4, s[34:35]
	s_add_u32 s2, s2, 4
	s_addc_u32 s3, s3, 0
	s_waitcnt vmcnt(0)
	v_mul_f32_e32 v0, v2, v0
	global_store_dword v4, v0, s[34:35]
	s_add_u32 s34, s34, 4
	s_addc_u32 s35, s35, 0
	s_cmp_ge_i32 s16, s26
	s_cbranch_scc0 .LBB1_36
; %bb.37:                               ;   in Loop: Header=BB1_4 Depth=1
	s_mov_b64 s[2:3], -1
.LBB1_38:                               ;   in Loop: Header=BB1_4 Depth=1
	v_cndmask_b32_e64 v0, 0, 1, s[0:1]
	s_and_b64 vcc, exec, s[2:3]
	v_cmp_ne_u32_e64 s[0:1], 1, v0
	s_cbranch_vccz .LBB1_48
; %bb.39:                               ;   in Loop: Header=BB1_4 Depth=1
	s_and_b64 vcc, exec, s[0:1]
	s_cbranch_vccnz .LBB1_48
; %bb.40:                               ;   in Loop: Header=BB1_4 Depth=1
	s_add_i32 s2, s27, 1
	s_max_i32 s2, s26, s2
	s_sub_i32 s36, s2, s27
	s_mov_b64 s[34:35], -1
	s_cmp_lt_u32 s36, 2
	s_mov_b32 s16, s27
	s_mov_b64 s[2:3], s[28:29]
	s_cbranch_scc1 .LBB1_45
; %bb.41:                               ;   in Loop: Header=BB1_4 Depth=1
	s_and_b32 s37, s36, -2
	s_mov_b32 s16, s27
	s_mov_b32 s2, s37
.LBB1_42:                               ;   Parent Loop BB1_4 Depth=1
                                        ; =>  This Inner Loop Header: Depth=2
	s_lshl_b64 s[34:35], s[16:17], 2
	s_add_u32 s34, s14, s34
	s_addc_u32 s35, s15, s35
	global_load_dwordx2 v[2:3], v4, s[34:35]
	s_add_i32 s2, s2, -2
	s_add_i32 s16, s16, 2
	s_cmp_lg_u32 s2, 0
	s_waitcnt vmcnt(0)
	v_pk_mul_f32 v[2:3], v[2:3], v[2:3]
	global_store_dwordx2 v4, v[2:3], s[34:35]
	s_cbranch_scc1 .LBB1_42
; %bb.43:                               ;   in Loop: Header=BB1_4 Depth=1
	s_cmp_eq_u32 s36, s37
	s_mov_b64 s[34:35], 0
                                        ; implicit-def: $sgpr2_sgpr3
	s_cbranch_scc1 .LBB1_45
; %bb.44:                               ;   in Loop: Header=BB1_4 Depth=1
	s_add_i32 s16, s27, s37
	s_lshl_b64 s[2:3], s[16:17], 2
	s_mov_b64 s[34:35], -1
.LBB1_45:                               ;   in Loop: Header=BB1_4 Depth=1
	s_and_b64 vcc, exec, s[34:35]
	s_cbranch_vccz .LBB1_48
; %bb.46:                               ;   in Loop: Header=BB1_4 Depth=1
	s_add_u32 s2, s61, s2
	s_addc_u32 s3, s62, s3
.LBB1_47:                               ;   Parent Loop BB1_4 Depth=1
                                        ; =>  This Inner Loop Header: Depth=2
	global_load_dword v0, v4, s[2:3]
	s_add_i32 s16, s16, 1
	s_waitcnt vmcnt(0)
	v_mul_f32_e32 v0, v0, v0
	global_store_dword v4, v0, s[2:3]
	s_add_u32 s2, s2, 4
	s_addc_u32 s3, s3, 0
	s_cmp_lt_i32 s16, s26
	s_cbranch_scc1 .LBB1_47
.LBB1_48:                               ;   in Loop: Header=BB1_4 Depth=1
	s_lshl_b64 s[2:3], s[8:9], 2
	s_add_u32 s2, s54, s2
	s_addc_u32 s3, s55, s3
	global_load_dword v0, v4, s[30:31]
	global_load_dword v2, v4, s[2:3]
	s_mov_b64 s[8:9], -1
                                        ; implicit-def: $sgpr41
	s_waitcnt vmcnt(0)
	v_cmp_lt_f32_e64 s[2:3], |v0|, |v2|
	s_and_b64 s[2:3], s[2:3], exec
	s_cselect_b32 s75, s27, s26
	s_cselect_b32 s34, s26, s27
	s_cmp_lt_i32 s74, s20
	s_cselect_b64 s[2:3], -1, 0
	v_cndmask_b32_e64 v0, 0, 1, s[2:3]
	s_cmp_lt_i32 s75, s34
	v_cmp_ne_u32_e64 s[2:3], 1, v0
	s_cbranch_scc0 .LBB1_51
; %bb.49:                               ;   in Loop: Header=BB1_4 Depth=1
	s_andn2_b64 vcc, exec, s[8:9]
	s_cbranch_vccz .LBB1_53
.LBB1_50:                               ;   in Loop: Header=BB1_4 Depth=1
	v_cmp_lt_f32_e32 vcc, s23, v6
	s_andn2_b64 vcc, exec, vcc
	s_cbranch_vccz .LBB1_151
	s_branch .LBB1_154
.LBB1_51:                               ;   in Loop: Header=BB1_4 Depth=1
	s_and_b64 vcc, exec, s[2:3]
	s_mov_b32 s41, s74
	s_mov_b32 s16, s34
	;; [unrolled: 1-line block ×3, first 2 shown]
	s_cbranch_vccz .LBB1_55
.LBB1_52:                               ;   in Loop: Header=BB1_4 Depth=1
	s_cbranch_execnz .LBB1_50
.LBB1_53:                               ;   in Loop: Header=BB1_4 Depth=1
	s_and_b64 vcc, exec, s[2:3]
	s_cbranch_vccz .LBB1_103
	s_branch .LBB1_150
.LBB1_54:                               ;   in Loop: Header=BB1_55 Depth=2
	s_andn2_b64 vcc, exec, s[36:37]
	s_mov_b32 s16, s46
	s_cbranch_vccz .LBB1_52
.LBB1_55:                               ;   Parent Loop BB1_4 Depth=1
                                        ; =>  This Loop Header: Depth=2
                                        ;       Child Loop BB1_57 Depth 3
                                        ;       Child Loop BB1_69 Depth 3
	s_max_i32 s40, s75, s16
	s_lshl_b64 s[42:43], s[16:17], 2
	s_add_u32 s36, s63, s42
	s_addc_u32 s37, s64, s43
	s_add_u32 s8, s67, s42
	s_addc_u32 s9, s68, s43
	s_mov_b32 s48, s16
	s_branch .LBB1_57
.LBB1_56:                               ;   in Loop: Header=BB1_57 Depth=3
	s_andn2_b64 vcc, exec, s[46:47]
	s_cbranch_vccz .LBB1_59
.LBB1_57:                               ;   Parent Loop BB1_4 Depth=1
                                        ;     Parent Loop BB1_55 Depth=2
                                        ; =>    This Inner Loop Header: Depth=3
	s_mov_b64 s[44:45], -1
	s_mov_b32 s41, s48
	s_cmp_ge_i32 s48, s75
	s_mov_b64 s[46:47], -1
                                        ; implicit-def: $sgpr48
                                        ; implicit-def: $sgpr38_sgpr39
	s_cbranch_scc1 .LBB1_56
; %bb.58:                               ;   in Loop: Header=BB1_57 Depth=3
	global_load_dwordx2 v[2:3], v4, s[8:9] offset:-4
	global_load_dword v0, v4, s[36:37] offset:4
	s_add_u32 s38, s36, 4
	s_addc_u32 s39, s37, 0
	s_add_i32 s48, s41, 1
	s_add_u32 s8, s8, 4
	s_mov_b64 s[44:45], 0
	s_addc_u32 s9, s9, 0
	s_mov_b64 s[36:37], s[38:39]
	s_waitcnt vmcnt(1)
	v_mul_f32_e32 v2, v2, v3
	v_mul_f32_e64 v2, v1, |v2|
	s_waitcnt vmcnt(0)
	v_cmp_le_f32_e64 s[46:47], |v0|, v2
	s_branch .LBB1_56
.LBB1_59:                               ;   in Loop: Header=BB1_55 Depth=2
	s_andn2_b64 vcc, exec, s[44:45]
	s_cbranch_vccz .LBB1_61
; %bb.60:                               ;   in Loop: Header=BB1_55 Depth=2
	s_mov_b32 s40, s41
	global_store_dword v4, v4, s[38:39]
.LBB1_61:                               ;   in Loop: Header=BB1_55 Depth=2
	s_add_i32 s46, s16, 1
	s_cmp_eq_u32 s40, s16
	s_mov_b64 s[36:37], -1
	s_cbranch_scc1 .LBB1_77
; %bb.62:                               ;   in Loop: Header=BB1_55 Depth=2
	s_add_u32 s38, s54, s42
	s_addc_u32 s39, s55, s43
	global_load_dword v2, v4, s[38:39]
	s_cmp_lg_u32 s40, s46
	s_cbranch_scc0 .LBB1_78
; %bb.63:                               ;   in Loop: Header=BB1_55 Depth=2
	s_mov_b64 s[44:45], 0
	s_cmp_lg_u32 s35, s20
	s_mov_b64 s[8:9], 0
                                        ; implicit-def: $sgpr48
	s_cbranch_scc0 .LBB1_82
; %bb.64:                               ;   in Loop: Header=BB1_55 Depth=2
	s_add_u32 s46, s14, s42
	s_addc_u32 s47, s15, s43
	global_load_dword v0, v4, s[46:47]
	s_mov_b32 s41, s17
	s_lshl_b64 s[8:9], s[40:41], 2
	s_add_u32 s8, s54, s8
	s_addc_u32 s9, s55, s9
	global_load_dword v3, v4, s[8:9]
	global_load_dword v7, v4, s[38:39] offset:4
	s_cmp_le_i32 s40, s16
	s_waitcnt vmcnt(2)
	v_mul_f32_e32 v8, 0x4f800000, v0
	v_cmp_gt_f32_e32 vcc, s71, v0
	v_cndmask_b32_e32 v0, v0, v8, vcc
	v_sqrt_f32_e32 v8, v0
	s_waitcnt vmcnt(0)
	v_sub_f32_e32 v7, v7, v2
	v_add_u32_e32 v9, -1, v8
	v_add_u32_e32 v10, 1, v8
	v_fma_f32 v11, -v9, v8, v0
	v_fma_f32 v12, -v10, v8, v0
	v_cmp_ge_f32_e64 s[8:9], 0, v11
	v_cndmask_b32_e64 v8, v8, v9, s[8:9]
	v_cmp_lt_f32_e64 s[8:9], 0, v12
	v_cndmask_b32_e64 v8, v8, v10, s[8:9]
	v_mul_f32_e32 v9, 0x37800000, v8
	v_cndmask_b32_e32 v8, v8, v9, vcc
	v_cmp_class_f32_e32 vcc, v0, v5
	v_cndmask_b32_e32 v0, v8, v0, vcc
	v_add_f32_e32 v8, v0, v0
	v_div_scale_f32 v9, s[8:9], v8, v8, v7
	v_rcp_f32_e32 v10, v9
	v_div_scale_f32 v11, vcc, v7, v8, v7
	v_fma_f32 v12, -v9, v10, 1.0
	v_fmac_f32_e32 v10, v12, v10
	v_mul_f32_e32 v12, v11, v10
	v_fma_f32 v13, -v9, v12, v11
	v_fmac_f32_e32 v12, v13, v10
	v_fma_f32 v9, -v9, v12, v11
	v_div_fmas_f32 v9, v9, v10, v12
	v_div_fixup_f32 v7, v9, v8, v7
	v_fma_f32 v8, v7, v7, 1.0
	v_mul_f32_e32 v9, 0x4f800000, v8
	v_cmp_gt_f32_e32 vcc, s71, v8
	v_cndmask_b32_e32 v8, v8, v9, vcc
	v_sqrt_f32_e32 v9, v8
	v_add_u32_e32 v10, -1, v9
	v_add_u32_e32 v11, 1, v9
	v_fma_f32 v12, -v10, v9, v8
	v_fma_f32 v13, -v11, v9, v8
	v_cmp_ge_f32_e64 s[8:9], 0, v12
	v_cndmask_b32_e64 v9, v9, v10, s[8:9]
	v_cmp_lt_f32_e64 s[8:9], 0, v13
	v_cndmask_b32_e64 v9, v9, v11, s[8:9]
	v_mul_f32_e32 v10, 0x37800000, v9
	v_cndmask_b32_e32 v9, v9, v10, vcc
	v_cmp_class_f32_e32 vcc, v8, v5
	v_cndmask_b32_e32 v8, v9, v8, vcc
	v_cmp_nle_f32_e32 vcc, 0, v7
	v_cndmask_b32_e64 v8, |v8|, -|v8|, vcc
	v_add_f32_e32 v7, v7, v8
	v_div_scale_f32 v8, s[8:9], v7, v7, v0
	v_rcp_f32_e32 v9, v8
	v_div_scale_f32 v10, vcc, v0, v7, v0
	v_fma_f32 v11, -v8, v9, 1.0
	v_fmac_f32_e32 v9, v11, v9
	v_mul_f32_e32 v11, v10, v9
	v_fma_f32 v12, -v8, v11, v10
	v_fmac_f32_e32 v11, v12, v9
	v_fma_f32 v8, -v8, v11, v10
	v_div_fmas_f32 v8, v8, v9, v11
	v_div_fixup_f32 v0, v8, v7, v0
	v_sub_f32_e32 v0, v2, v0
	v_sub_f32_e32 v8, v3, v0
	v_mul_f32_e32 v9, v8, v8
	v_mov_b32_e32 v7, 0
	s_cbranch_scc1 .LBB1_81
; %bb.65:                               ;   in Loop: Header=BB1_55 Depth=2
	s_ashr_i32 s41, s40, 31
	s_lshl_b64 s[8:9], s[40:41], 2
	s_add_u32 s48, s57, s8
	s_addc_u32 s49, s58, s9
	global_load_dword v3, v4, s[48:49]
	s_add_u32 s48, s59, s8
	s_addc_u32 s49, s60, s9
	global_load_dword v11, v4, s[48:49]
	s_add_u32 s48, s54, s8
	s_addc_u32 s49, s55, s9
	s_waitcnt vmcnt(1)
	v_add_f32_e32 v7, v9, v3
	v_div_scale_f32 v10, s[8:9], v7, v7, v9
	v_div_scale_f32 v13, s[8:9], v7, v7, v3
	v_rcp_f32_e32 v14, v10
	v_rcp_f32_e32 v15, v13
	v_div_scale_f32 v12, vcc, v9, v7, v9
	v_fma_f32 v18, -v10, v14, 1.0
	v_fma_f32 v19, -v13, v15, 1.0
	v_fmac_f32_e32 v14, v18, v14
	v_div_scale_f32 v16, s[8:9], v3, v7, v3
	v_fmac_f32_e32 v15, v19, v15
	v_mul_f32_e32 v18, v12, v14
	v_mul_f32_e32 v19, v16, v15
	v_fma_f32 v20, -v10, v18, v12
	v_fma_f32 v21, -v13, v19, v16
	v_fmac_f32_e32 v18, v20, v14
	v_fmac_f32_e32 v19, v21, v15
	v_fma_f32 v10, -v10, v18, v12
	v_fma_f32 v12, -v13, v19, v16
	v_div_fmas_f32 v10, v10, v14, v18
	s_mov_b64 vcc, s[8:9]
	v_div_fixup_f32 v9, v10, v7, v9
	v_div_fmas_f32 v10, v12, v15, v19
	v_div_fixup_f32 v7, v10, v7, v3
	s_waitcnt vmcnt(0)
	v_sub_f32_e32 v17, v11, v0
	v_mul_f32_e32 v10, v8, v7
	v_fma_f32 v10, v9, v17, -v10
	v_cmp_eq_f32_e32 vcc, 0, v9
	v_sub_f32_e32 v11, v11, v10
	v_add_f32_e32 v8, v8, v11
	global_store_dword v4, v8, s[48:49]
	s_cbranch_vccnz .LBB1_67
; %bb.66:                               ;   in Loop: Header=BB1_55 Depth=2
	v_mul_f32_e32 v3, v10, v10
	v_div_scale_f32 v8, s[8:9], v9, v9, v3
	v_rcp_f32_e32 v11, v8
	v_div_scale_f32 v12, vcc, v3, v9, v3
	v_fma_f32 v13, -v8, v11, 1.0
	v_fmac_f32_e32 v11, v13, v11
	v_mul_f32_e32 v13, v12, v11
	v_fma_f32 v14, -v8, v13, v12
	v_fmac_f32_e32 v13, v14, v11
	v_fma_f32 v8, -v8, v13, v12
	v_div_fmas_f32 v8, v8, v11, v13
	v_div_fixup_f32 v3, v8, v9, v3
.LBB1_67:                               ;   in Loop: Header=BB1_55 Depth=2
	s_add_i32 s8, s40, -1
	s_cmp_le_i32 s8, s16
	s_cbranch_scc1 .LBB1_79
; %bb.68:                               ;   in Loop: Header=BB1_55 Depth=2
	s_add_i32 s8, s40, -2
	s_ashr_i32 s9, s8, 31
	s_lshl_b64 s[8:9], s[8:9], 2
	s_add_u32 s50, s67, s8
	s_addc_u32 s51, s68, s9
	s_add_u32 s8, s69, s8
	s_addc_u32 s9, s70, s9
	s_mov_b32 s41, -1
.LBB1_69:                               ;   Parent Loop BB1_4 Depth=1
                                        ;     Parent Loop BB1_55 Depth=2
                                        ; =>    This Inner Loop Header: Depth=3
	global_load_dword v11, v4, s[8:9] offset:-4
	s_add_u32 s48, s8, -4
	s_addc_u32 s49, s9, -1
	s_cmp_eq_u32 s41, 0
	s_waitcnt vmcnt(0)
	v_add_f32_e32 v8, v3, v11
	s_cbranch_scc1 .LBB1_71
; %bb.70:                               ;   in Loop: Header=BB1_69 Depth=3
	v_mul_f32_e32 v7, v7, v8
	global_store_dword v4, v7, s[8:9]
.LBB1_71:                               ;   in Loop: Header=BB1_69 Depth=3
	global_load_dword v13, v4, s[50:51] offset:-4
	v_div_scale_f32 v7, s[8:9], v8, v8, v3
	v_div_scale_f32 v14, s[8:9], v8, v8, v11
	v_rcp_f32_e32 v16, v7
	v_rcp_f32_e32 v17, v14
	v_div_scale_f32 v12, vcc, v3, v8, v3
	v_fma_f32 v18, -v7, v16, 1.0
	v_fma_f32 v19, -v14, v17, 1.0
	v_fmac_f32_e32 v16, v18, v16
	v_div_scale_f32 v15, s[8:9], v11, v8, v11
	v_fmac_f32_e32 v17, v19, v17
	v_mul_f32_e32 v18, v12, v16
	v_mul_f32_e32 v19, v15, v17
	v_fma_f32 v20, -v7, v18, v12
	v_fma_f32 v21, -v14, v19, v15
	v_fmac_f32_e32 v18, v20, v16
	v_fmac_f32_e32 v19, v21, v17
	v_fma_f32 v7, -v7, v18, v12
	v_fma_f32 v14, -v14, v19, v15
	v_div_fmas_f32 v7, v7, v16, v18
	s_mov_b64 vcc, s[8:9]
	v_div_fixup_f32 v12, v7, v8, v3
	v_div_fmas_f32 v3, v14, v17, v19
	v_div_fixup_f32 v7, v3, v8, v11
	v_mul_f32_e32 v3, v10, v7
	s_add_u32 s52, s50, -4
	v_cmp_eq_f32_e32 vcc, 0, v12
	s_addc_u32 s53, s51, -1
	s_and_b64 vcc, exec, vcc
	s_waitcnt vmcnt(0)
	v_sub_f32_e32 v8, v13, v0
	v_fma_f32 v8, v12, v8, -v3
	v_sub_f32_e32 v3, v13, v8
	v_add_f32_e32 v3, v10, v3
	global_store_dword v4, v3, s[50:51]
	s_cbranch_vccz .LBB1_76
; %bb.72:                               ;   in Loop: Header=BB1_69 Depth=3
	v_mul_f32_e32 v3, v9, v11
	s_cbranch_execnz .LBB1_74
.LBB1_73:                               ;   in Loop: Header=BB1_69 Depth=3
	v_mul_f32_e32 v3, v8, v8
	v_div_scale_f32 v9, s[8:9], v12, v12, v3
	v_rcp_f32_e32 v10, v9
	v_div_scale_f32 v11, vcc, v3, v12, v3
	v_fma_f32 v13, -v9, v10, 1.0
	v_fmac_f32_e32 v10, v13, v10
	v_mul_f32_e32 v13, v11, v10
	v_fma_f32 v14, -v9, v13, v11
	v_fmac_f32_e32 v13, v14, v10
	v_fma_f32 v9, -v9, v13, v11
	v_div_fmas_f32 v9, v9, v10, v13
	v_div_fixup_f32 v3, v9, v12, v3
.LBB1_74:                               ;   in Loop: Header=BB1_69 Depth=3
	s_add_i32 s41, s41, -1
	s_add_i32 s8, s40, s41
	s_cmp_le_i32 s8, s16
	s_cbranch_scc1 .LBB1_80
; %bb.75:                               ;   in Loop: Header=BB1_69 Depth=3
	s_mov_b64 s[8:9], s[48:49]
	s_mov_b64 s[50:51], s[52:53]
	v_mov_b32_e32 v9, v12
	v_mov_b32_e32 v10, v8
	s_branch .LBB1_69
.LBB1_76:                               ;   in Loop: Header=BB1_69 Depth=3
                                        ; implicit-def: $vgpr3
	s_branch .LBB1_73
.LBB1_77:                               ;   in Loop: Header=BB1_55 Depth=2
                                        ; implicit-def: $sgpr41
	s_cbranch_execz .LBB1_54
	s_branch .LBB1_101
.LBB1_78:                               ;   in Loop: Header=BB1_55 Depth=2
	s_mov_b64 s[8:9], 0
                                        ; implicit-def: $sgpr41
                                        ; implicit-def: $sgpr46
                                        ; implicit-def: $sgpr48
	s_cbranch_execnz .LBB1_83
	s_branch .LBB1_100
.LBB1_79:                               ;   in Loop: Header=BB1_55 Depth=2
	v_mov_b32_e32 v8, v10
.LBB1_80:                               ;   in Loop: Header=BB1_55 Depth=2
	v_mov_b32_e32 v9, v3
.LBB1_81:                               ;   in Loop: Header=BB1_55 Depth=2
	v_mul_f32_e32 v3, v7, v9
	v_add_f32_e32 v0, v0, v8
	s_add_i32 s48, s35, 1
	global_store_dword v4, v3, s[46:47]
	global_store_dword v4, v0, s[38:39]
	s_mov_b64 s[8:9], -1
.LBB1_82:                               ;   in Loop: Header=BB1_55 Depth=2
	s_mov_b32 s41, s20
	s_mov_b32 s46, s16
	s_and_b64 vcc, exec, s[44:45]
	s_cbranch_vccz .LBB1_100
.LBB1_83:                               ;   in Loop: Header=BB1_55 Depth=2
	s_add_u32 s42, s14, s42
	s_addc_u32 s43, s15, s43
	global_load_dword v0, v4, s[42:43]
	s_mov_b32 s41, s17
	s_lshl_b64 s[8:9], s[40:41], 2
	s_add_u32 s40, s54, s8
	s_addc_u32 s41, s55, s9
	global_load_dword v3, v4, s[40:41]
	s_waitcnt vmcnt(1)
	v_mul_f32_e32 v7, 0x4f800000, v0
	v_cmp_gt_f32_e32 vcc, s71, v0
	v_cndmask_b32_e32 v0, v0, v7, vcc
	v_sqrt_f32_e32 v7, v0
	s_waitcnt vmcnt(0)
	v_sub_f32_e32 v8, v2, v3
	v_add_u32_e32 v9, -1, v7
	v_add_u32_e32 v10, 1, v7
	v_fma_f32 v11, -v9, v7, v0
	v_fma_f32 v12, -v10, v7, v0
	v_cmp_ge_f32_e64 s[8:9], 0, v11
	v_cndmask_b32_e64 v7, v7, v9, s[8:9]
	v_cmp_lt_f32_e64 s[8:9], 0, v12
	v_cndmask_b32_e64 v7, v7, v10, s[8:9]
	v_mul_f32_e32 v9, 0x37800000, v7
	v_cndmask_b32_e32 v7, v7, v9, vcc
	v_cmp_class_f32_e32 vcc, v0, v5
	v_cndmask_b32_e32 v7, v7, v0, vcc
	v_add_f32_e32 v9, v7, v7
	v_cmp_ngt_f32_e64 s[8:9], |v8|, |v9|
	v_and_b32_e32 v10, 0x7fffffff, v9
	s_and_b64 vcc, exec, s[8:9]
	s_cbranch_vccz .LBB1_86
; %bb.84:                               ;   in Loop: Header=BB1_55 Depth=2
	v_cmp_nlt_f32_e64 s[8:9], |v8|, |v9|
	s_and_b64 vcc, exec, s[8:9]
	s_cbranch_vccz .LBB1_87
; %bb.85:                               ;   in Loop: Header=BB1_55 Depth=2
	v_cvt_f64_f32_e32 v[12:13], v10
	v_mul_f64 v[12:13], v[12:13], s[18:19]
	v_cvt_f32_f64_e32 v0, v[12:13]
	s_cbranch_execz .LBB1_88
	s_branch .LBB1_89
.LBB1_86:                               ;   in Loop: Header=BB1_55 Depth=2
                                        ; implicit-def: $vgpr0
	s_branch .LBB1_90
.LBB1_87:                               ;   in Loop: Header=BB1_55 Depth=2
                                        ; implicit-def: $vgpr0
.LBB1_88:                               ;   in Loop: Header=BB1_55 Depth=2
	v_and_b32_e32 v0, 0x7fffffff, v8
	v_div_scale_f32 v11, s[8:9], v10, v10, v0
	v_rcp_f32_e32 v12, v11
	v_div_scale_f32 v0, vcc, v0, v10, v0
	v_fma_f32 v13, -v11, v12, 1.0
	v_fmac_f32_e32 v12, v13, v12
	v_mul_f32_e32 v13, v0, v12
	v_fma_f32 v14, -v11, v13, v0
	v_fmac_f32_e32 v13, v14, v12
	v_fma_f32 v0, -v11, v13, v0
	v_div_fmas_f32 v0, v0, v12, v13
	v_div_fixup_f32 v0, v0, |v9|, |v8|
	v_fma_f32 v0, v0, v0, 1.0
	v_mul_f32_e32 v11, 0x4f800000, v0
	v_cmp_gt_f32_e32 vcc, s71, v0
	v_cndmask_b32_e32 v0, v0, v11, vcc
	v_sqrt_f32_e32 v11, v0
	v_add_u32_e32 v12, -1, v11
	v_fma_f32 v13, -v12, v11, v0
	v_cmp_ge_f32_e64 s[8:9], 0, v13
	v_add_u32_e32 v13, 1, v11
	v_cndmask_b32_e64 v12, v11, v12, s[8:9]
	v_fma_f32 v11, -v13, v11, v0
	v_cmp_lt_f32_e64 s[8:9], 0, v11
	v_cndmask_b32_e64 v11, v12, v13, s[8:9]
	v_mul_f32_e32 v12, 0x37800000, v11
	v_cndmask_b32_e32 v11, v11, v12, vcc
	v_cmp_class_f32_e32 vcc, v0, v5
	v_cndmask_b32_e32 v0, v11, v0, vcc
	v_mul_f32_e64 v0, |v9|, v0
.LBB1_89:                               ;   in Loop: Header=BB1_55 Depth=2
	s_cbranch_execnz .LBB1_91
.LBB1_90:                               ;   in Loop: Header=BB1_55 Depth=2
	v_and_b32_e32 v0, 0x7fffffff, v8
	v_div_scale_f32 v11, s[8:9], v0, v0, v10
	v_rcp_f32_e32 v12, v11
	v_div_scale_f32 v0, vcc, v10, v0, v10
	v_fma_f32 v10, -v11, v12, 1.0
	v_fmac_f32_e32 v12, v10, v12
	v_mul_f32_e32 v10, v0, v12
	v_fma_f32 v13, -v11, v10, v0
	v_fmac_f32_e32 v10, v13, v12
	v_fma_f32 v0, -v11, v10, v0
	v_div_fmas_f32 v0, v0, v12, v10
	v_div_fixup_f32 v0, v0, |v8|, |v9|
	v_fma_f32 v0, v0, v0, 1.0
	v_mul_f32_e32 v9, 0x4f800000, v0
	v_cmp_gt_f32_e32 vcc, s71, v0
	v_cndmask_b32_e32 v0, v0, v9, vcc
	v_sqrt_f32_e32 v9, v0
	v_add_u32_e32 v10, -1, v9
	v_fma_f32 v11, -v10, v9, v0
	v_cmp_ge_f32_e64 s[8:9], 0, v11
	v_add_u32_e32 v11, 1, v9
	v_cndmask_b32_e64 v10, v9, v10, s[8:9]
	v_fma_f32 v9, -v11, v9, v0
	v_cmp_lt_f32_e64 s[8:9], 0, v9
	v_cndmask_b32_e64 v9, v10, v11, s[8:9]
	v_mul_f32_e32 v10, 0x37800000, v9
	v_cndmask_b32_e32 v9, v9, v10, vcc
	v_cmp_class_f32_e32 vcc, v0, v5
	v_cndmask_b32_e32 v0, v9, v0, vcc
	v_mul_f32_e64 v0, |v8|, v0
.LBB1_91:                               ;   in Loop: Header=BB1_55 Depth=2
	v_add_f32_e32 v9, v2, v3
	v_cmp_gt_f32_e64 vcc, |v2|, |v3|
	v_cndmask_b32_e32 v8, v2, v3, vcc
	v_cndmask_b32_e32 v10, v3, v2, vcc
	v_cmp_ngt_f32_e32 vcc, 0, v9
	s_cbranch_vccz .LBB1_94
; %bb.92:                               ;   in Loop: Header=BB1_55 Depth=2
	v_cmp_nlt_f32_e32 vcc, 0, v9
	s_cbranch_vccz .LBB1_95
; %bb.93:                               ;   in Loop: Header=BB1_55 Depth=2
	v_pk_mul_f32 v[2:3], v[0:1], s[24:25] op_sel_hi:[0,1]
	s_cbranch_execz .LBB1_96
	s_branch .LBB1_97
.LBB1_94:                               ;   in Loop: Header=BB1_55 Depth=2
                                        ; implicit-def: $vgpr3
	s_branch .LBB1_98
.LBB1_95:                               ;   in Loop: Header=BB1_55 Depth=2
                                        ; implicit-def: $vgpr3
.LBB1_96:                               ;   in Loop: Header=BB1_55 Depth=2
	v_add_f32_e32 v2, v9, v0
	v_mul_f32_e32 v2, 0.5, v2
	v_cvt_f64_f32_e32 v[12:13], v10
	v_cvt_f64_f32_e32 v[14:15], v2
	v_div_scale_f64 v[16:17], s[8:9], v[14:15], v[14:15], v[12:13]
	v_rcp_f64_e32 v[18:19], v[16:17]
	v_fma_f64 v[20:21], -v[16:17], v[18:19], 1.0
	v_fmac_f64_e32 v[18:19], v[18:19], v[20:21]
	v_fma_f64 v[20:21], -v[16:17], v[18:19], 1.0
	v_fmac_f64_e32 v[18:19], v[18:19], v[20:21]
	v_div_scale_f64 v[20:21], vcc, v[12:13], v[14:15], v[12:13]
	v_mul_f64 v[22:23], v[20:21], v[18:19]
	v_fma_f64 v[16:17], -v[16:17], v[22:23], v[20:21]
	v_cvt_f64_f32_e32 v[20:21], v7
	v_div_scale_f64 v[24:25], s[8:9], v[14:15], v[14:15], v[20:21]
	v_rcp_f64_e32 v[26:27], v[24:25]
	v_div_fmas_f64 v[16:17], v[16:17], v[18:19], v[22:23]
	v_div_fixup_f64 v[12:13], v[16:17], v[14:15], v[12:13]
	v_cvt_f64_f32_e32 v[16:17], v8
	v_fma_f64 v[18:19], -v[24:25], v[26:27], 1.0
	v_fmac_f64_e32 v[26:27], v[26:27], v[18:19]
	v_fma_f64 v[18:19], -v[24:25], v[26:27], 1.0
	v_fmac_f64_e32 v[26:27], v[26:27], v[18:19]
	v_div_scale_f64 v[18:19], vcc, v[20:21], v[14:15], v[20:21]
	v_mul_f64 v[22:23], v[18:19], v[26:27]
	v_fma_f64 v[18:19], -v[24:25], v[22:23], v[18:19]
	s_nop 1
	v_div_fmas_f64 v[18:19], v[18:19], v[26:27], v[22:23]
	v_div_fixup_f64 v[14:15], v[18:19], v[14:15], v[20:21]
	v_mul_f64 v[14:15], v[14:15], v[20:21]
	v_fma_f64 v[12:13], v[12:13], v[16:17], -v[14:15]
	v_cvt_f32_f64_e32 v3, v[12:13]
.LBB1_97:                               ;   in Loop: Header=BB1_55 Depth=2
	s_cbranch_execnz .LBB1_99
.LBB1_98:                               ;   in Loop: Header=BB1_55 Depth=2
	v_sub_f32_e32 v0, v9, v0
	v_mul_f32_e32 v2, 0.5, v0
	v_cvt_f64_f32_e32 v[10:11], v10
	v_cvt_f64_f32_e32 v[12:13], v2
	v_div_scale_f64 v[14:15], s[8:9], v[12:13], v[12:13], v[10:11]
	v_rcp_f64_e32 v[16:17], v[14:15]
	v_cvt_f64_f32_e32 v[8:9], v8
	v_fma_f64 v[18:19], -v[14:15], v[16:17], 1.0
	v_fmac_f64_e32 v[16:17], v[16:17], v[18:19]
	v_fma_f64 v[18:19], -v[14:15], v[16:17], 1.0
	v_fmac_f64_e32 v[16:17], v[16:17], v[18:19]
	v_div_scale_f64 v[18:19], vcc, v[10:11], v[12:13], v[10:11]
	v_mul_f64 v[20:21], v[18:19], v[16:17]
	v_fma_f64 v[14:15], -v[14:15], v[20:21], v[18:19]
	v_cvt_f64_f32_e32 v[18:19], v7
	v_div_scale_f64 v[22:23], s[8:9], v[12:13], v[12:13], v[18:19]
	v_rcp_f64_e32 v[24:25], v[22:23]
	v_div_fmas_f64 v[14:15], v[14:15], v[16:17], v[20:21]
	v_div_fixup_f64 v[10:11], v[14:15], v[12:13], v[10:11]
	v_fma_f64 v[14:15], -v[22:23], v[24:25], 1.0
	v_fmac_f64_e32 v[24:25], v[24:25], v[14:15]
	v_fma_f64 v[14:15], -v[22:23], v[24:25], 1.0
	v_fmac_f64_e32 v[24:25], v[24:25], v[14:15]
	v_div_scale_f64 v[14:15], vcc, v[18:19], v[12:13], v[18:19]
	v_mul_f64 v[16:17], v[14:15], v[24:25]
	v_fma_f64 v[14:15], -v[22:23], v[16:17], v[14:15]
	s_nop 1
	v_div_fmas_f64 v[14:15], v[14:15], v[24:25], v[16:17]
	v_div_fixup_f64 v[12:13], v[14:15], v[12:13], v[18:19]
	v_mul_f64 v[12:13], v[12:13], v[18:19]
	v_fma_f64 v[8:9], v[10:11], v[8:9], -v[12:13]
	v_cvt_f32_f64_e32 v3, v[8:9]
.LBB1_99:                               ;   in Loop: Header=BB1_55 Depth=2
	s_add_i32 s46, s16, 2
	s_mov_b64 s[8:9], -1
	s_mov_b32 s48, s35
	global_store_dword v4, v2, s[38:39]
	global_store_dword v4, v3, s[40:41]
	;; [unrolled: 1-line block ×3, first 2 shown]
                                        ; implicit-def: $sgpr41
.LBB1_100:                              ;   in Loop: Header=BB1_55 Depth=2
	s_mov_b32 s35, s48
	s_and_b64 vcc, exec, s[8:9]
	s_cbranch_vccz .LBB1_54
.LBB1_101:                              ;   in Loop: Header=BB1_55 Depth=2
	s_cmp_gt_i32 s46, s75
	s_cselect_b64 s[8:9], -1, 0
	s_cmp_ge_i32 s35, s20
	s_cselect_b64 s[36:37], -1, 0
	s_or_b64 s[36:37], s[8:9], s[36:37]
	s_mov_b32 s41, s35
	s_branch .LBB1_54
.LBB1_102:                              ;   in Loop: Header=BB1_103 Depth=2
	s_andn2_b64 vcc, exec, s[8:9]
	s_mov_b32 s34, s16
	s_cbranch_vccz .LBB1_149
.LBB1_103:                              ;   Parent Loop BB1_4 Depth=1
                                        ; =>  This Loop Header: Depth=2
                                        ;       Child Loop BB1_105 Depth 3
                                        ;       Child Loop BB1_118 Depth 3
	s_ashr_i32 s35, s34, 31
	s_min_i32 s38, s75, s34
	s_lshl_b64 s[2:3], s[34:35], 2
	s_add_u32 s36, s65, s2
	s_addc_u32 s37, s66, s3
	s_add_u32 s8, s69, s2
	s_addc_u32 s9, s70, s3
	s_mov_b32 s35, s34
	s_branch .LBB1_105
.LBB1_104:                              ;   in Loop: Header=BB1_105 Depth=3
	s_andn2_b64 vcc, exec, s[42:43]
	s_cbranch_vccz .LBB1_107
.LBB1_105:                              ;   Parent Loop BB1_4 Depth=1
                                        ;     Parent Loop BB1_103 Depth=2
                                        ; =>    This Inner Loop Header: Depth=3
	s_mov_b64 s[40:41], -1
	s_mov_b32 s16, s35
	s_cmp_le_i32 s35, s75
	s_mov_b64 s[42:43], -1
                                        ; implicit-def: $sgpr35
	s_cbranch_scc1 .LBB1_104
; %bb.106:                              ;   in Loop: Header=BB1_105 Depth=3
	global_load_dwordx2 v[2:3], v4, s[36:37] offset:-4
	global_load_dword v0, v4, s[8:9] offset:-8
	s_add_i32 s35, s16, -1
	s_add_u32 s36, s36, -4
	s_addc_u32 s37, s37, -1
	s_add_u32 s8, s8, -4
	s_mov_b64 s[40:41], 0
	s_addc_u32 s9, s9, -1
	s_waitcnt vmcnt(1)
	v_mul_f32_e32 v2, v3, v2
	v_mul_f32_e64 v2, v1, |v2|
	s_waitcnt vmcnt(0)
	v_cmp_le_f32_e64 s[42:43], |v0|, v2
	s_branch .LBB1_104
.LBB1_107:                              ;   in Loop: Header=BB1_103 Depth=2
	s_andn2_b64 vcc, exec, s[40:41]
	s_cbranch_vccz .LBB1_109
; %bb.108:                              ;   in Loop: Header=BB1_103 Depth=2
	s_mov_b32 s38, s16
	global_store_dword v4, v4, s[8:9] offset:-4
.LBB1_109:                              ;   in Loop: Header=BB1_103 Depth=2
	s_add_i32 s16, s34, -1
	s_cmp_eq_u32 s38, s34
	s_mov_b64 s[8:9], -1
	s_cbranch_scc1 .LBB1_124
; %bb.110:                              ;   in Loop: Header=BB1_103 Depth=2
	s_add_u32 s36, s54, s2
	s_addc_u32 s37, s55, s3
	global_load_dword v2, v4, s[36:37]
	s_cmp_lg_u32 s38, s16
	s_cbranch_scc0 .LBB1_125
; %bb.111:                              ;   in Loop: Header=BB1_103 Depth=2
	s_mov_b64 s[40:41], 0
	s_cmp_lg_u32 s74, s20
	s_mov_b64 s[42:43], 0
                                        ; implicit-def: $sgpr35
	s_cbranch_scc0 .LBB1_129
; %bb.112:                              ;   in Loop: Header=BB1_103 Depth=2
	s_add_u32 s42, s57, s2
	s_addc_u32 s43, s58, s3
	global_load_dword v0, v4, s[42:43]
	s_ashr_i32 s39, s38, 31
	s_lshl_b64 s[46:47], s[38:39], 2
	s_add_u32 s44, s54, s46
	s_addc_u32 s45, s55, s47
	global_load_dword v3, v4, s[44:45]
	global_load_dword v7, v4, s[36:37] offset:-4
	s_cmp_ge_i32 s38, s34
	s_waitcnt vmcnt(2)
	v_mul_f32_e32 v8, 0x4f800000, v0
	v_cmp_gt_f32_e32 vcc, s71, v0
	v_cndmask_b32_e32 v0, v0, v8, vcc
	v_sqrt_f32_e32 v8, v0
	s_waitcnt vmcnt(0)
	v_sub_f32_e32 v7, v7, v2
	v_add_u32_e32 v9, -1, v8
	v_add_u32_e32 v10, 1, v8
	v_fma_f32 v11, -v9, v8, v0
	v_fma_f32 v12, -v10, v8, v0
	v_cmp_ge_f32_e64 s[2:3], 0, v11
	v_cndmask_b32_e64 v8, v8, v9, s[2:3]
	v_cmp_lt_f32_e64 s[2:3], 0, v12
	v_cndmask_b32_e64 v8, v8, v10, s[2:3]
	v_mul_f32_e32 v9, 0x37800000, v8
	v_cndmask_b32_e32 v8, v8, v9, vcc
	v_cmp_class_f32_e32 vcc, v0, v5
	v_cndmask_b32_e32 v0, v8, v0, vcc
	v_add_f32_e32 v8, v0, v0
	v_div_scale_f32 v9, s[2:3], v8, v8, v7
	v_rcp_f32_e32 v10, v9
	v_div_scale_f32 v11, vcc, v7, v8, v7
	v_fma_f32 v12, -v9, v10, 1.0
	v_fmac_f32_e32 v10, v12, v10
	v_mul_f32_e32 v12, v11, v10
	v_fma_f32 v13, -v9, v12, v11
	v_fmac_f32_e32 v12, v13, v10
	v_fma_f32 v9, -v9, v12, v11
	v_div_fmas_f32 v9, v9, v10, v12
	v_div_fixup_f32 v7, v9, v8, v7
	v_fma_f32 v8, v7, v7, 1.0
	v_mul_f32_e32 v9, 0x4f800000, v8
	v_cmp_gt_f32_e32 vcc, s71, v8
	v_cndmask_b32_e32 v8, v8, v9, vcc
	v_sqrt_f32_e32 v9, v8
	v_add_u32_e32 v10, -1, v9
	v_add_u32_e32 v11, 1, v9
	v_fma_f32 v12, -v10, v9, v8
	v_fma_f32 v13, -v11, v9, v8
	v_cmp_ge_f32_e64 s[2:3], 0, v12
	v_cndmask_b32_e64 v9, v9, v10, s[2:3]
	v_cmp_lt_f32_e64 s[2:3], 0, v13
	v_cndmask_b32_e64 v9, v9, v11, s[2:3]
	v_mul_f32_e32 v10, 0x37800000, v9
	v_cndmask_b32_e32 v9, v9, v10, vcc
	v_cmp_class_f32_e32 vcc, v8, v5
	v_cndmask_b32_e32 v8, v9, v8, vcc
	v_cmp_nle_f32_e32 vcc, 0, v7
	v_cndmask_b32_e64 v8, |v8|, -|v8|, vcc
	v_add_f32_e32 v7, v7, v8
	v_div_scale_f32 v8, s[2:3], v7, v7, v0
	v_rcp_f32_e32 v9, v8
	v_div_scale_f32 v10, vcc, v0, v7, v0
	v_fma_f32 v11, -v8, v9, 1.0
	v_fmac_f32_e32 v9, v11, v9
	v_mul_f32_e32 v11, v10, v9
	v_fma_f32 v12, -v8, v11, v10
	v_fmac_f32_e32 v11, v12, v9
	v_fma_f32 v8, -v8, v11, v10
	v_div_fmas_f32 v8, v8, v9, v11
	v_div_fixup_f32 v0, v8, v7, v0
	v_sub_f32_e32 v0, v2, v0
	v_sub_f32_e32 v8, v3, v0
	v_mul_f32_e32 v9, v8, v8
	v_mov_b32_e32 v7, 0
	s_cbranch_scc1 .LBB1_128
; %bb.113:                              ;   in Loop: Header=BB1_103 Depth=2
	s_add_u32 s2, s14, s46
	s_addc_u32 s3, s15, s47
	global_load_dword v3, v4, s[2:3]
	global_load_dword v11, v4, s[44:45] offset:4
	s_waitcnt vmcnt(1)
	v_add_f32_e32 v7, v9, v3
	v_div_scale_f32 v12, s[2:3], v7, v7, v9
	v_div_scale_f32 v14, s[2:3], v7, v7, v3
	v_rcp_f32_e32 v15, v12
	v_rcp_f32_e32 v16, v14
	v_div_scale_f32 v13, vcc, v9, v7, v9
	v_fma_f32 v18, -v12, v15, 1.0
	v_fma_f32 v19, -v14, v16, 1.0
	v_fmac_f32_e32 v15, v18, v15
	v_div_scale_f32 v17, s[2:3], v3, v7, v3
	v_fmac_f32_e32 v16, v19, v16
	v_mul_f32_e32 v18, v13, v15
	v_mul_f32_e32 v19, v17, v16
	v_fma_f32 v20, -v12, v18, v13
	v_fma_f32 v21, -v14, v19, v17
	v_fmac_f32_e32 v18, v20, v15
	v_fmac_f32_e32 v19, v21, v16
	v_fma_f32 v12, -v12, v18, v13
	v_fma_f32 v13, -v14, v19, v17
	v_div_fmas_f32 v12, v12, v15, v18
	s_mov_b64 vcc, s[2:3]
	v_div_fixup_f32 v9, v12, v7, v9
	v_div_fmas_f32 v12, v13, v16, v19
	v_div_fixup_f32 v7, v12, v7, v3
	s_waitcnt vmcnt(0)
	v_sub_f32_e32 v10, v11, v0
	v_mul_f32_e32 v12, v8, v7
	v_fma_f32 v10, v9, v10, -v12
	v_cmp_eq_f32_e32 vcc, 0, v9
	v_sub_f32_e32 v11, v11, v10
	v_add_f32_e32 v8, v8, v11
	global_store_dword v4, v8, s[44:45]
	s_cbranch_vccnz .LBB1_115
; %bb.114:                              ;   in Loop: Header=BB1_103 Depth=2
	v_mul_f32_e32 v3, v10, v10
	v_div_scale_f32 v8, s[2:3], v9, v9, v3
	v_rcp_f32_e32 v11, v8
	v_div_scale_f32 v12, vcc, v3, v9, v3
	v_fma_f32 v13, -v8, v11, 1.0
	v_fmac_f32_e32 v11, v13, v11
	v_mul_f32_e32 v13, v12, v11
	v_fma_f32 v14, -v8, v13, v12
	v_fmac_f32_e32 v13, v14, v11
	v_fma_f32 v8, -v8, v13, v12
	v_div_fmas_f32 v8, v8, v11, v13
	v_div_fixup_f32 v3, v8, v9, v3
.LBB1_115:                              ;   in Loop: Header=BB1_103 Depth=2
	s_add_i32 s2, s38, 1
	s_cmp_ge_i32 s2, s34
	s_cbranch_scc1 .LBB1_126
; %bb.116:                              ;   in Loop: Header=BB1_103 Depth=2
	s_ashr_i32 s3, s2, 31
	s_lshl_b64 s[2:3], s[2:3], 2
	s_add_u32 s44, s61, s2
	s_addc_u32 s45, s62, s3
	s_add_u32 s46, s67, s2
	s_addc_u32 s47, s68, s3
	s_mov_b32 s16, 1
	global_load_dword v11, v4, s[44:45]
	s_cmp_eq_u32 s16, 0
	s_waitcnt vmcnt(0)
	v_add_f32_e32 v8, v3, v11
	s_cbranch_scc1 .LBB1_118
.LBB1_117:                              ;   in Loop: Header=BB1_103 Depth=2
	v_mul_f32_e32 v7, v7, v8
	global_store_dword v4, v7, s[44:45] offset:-4
.LBB1_118:                              ;   Parent Loop BB1_4 Depth=1
                                        ;     Parent Loop BB1_103 Depth=2
                                        ; =>    This Inner Loop Header: Depth=3
	global_load_dword v13, v4, s[46:47]
	v_div_scale_f32 v7, s[2:3], v8, v8, v3
	v_div_scale_f32 v14, s[2:3], v8, v8, v11
	v_rcp_f32_e32 v15, v7
	v_rcp_f32_e32 v16, v14
	v_div_scale_f32 v12, vcc, v3, v8, v3
	v_fma_f32 v18, -v7, v15, 1.0
	v_fma_f32 v19, -v14, v16, 1.0
	v_fmac_f32_e32 v15, v18, v15
	v_div_scale_f32 v17, s[2:3], v11, v8, v11
	v_fmac_f32_e32 v16, v19, v16
	v_mul_f32_e32 v18, v12, v15
	v_mul_f32_e32 v19, v17, v16
	v_fma_f32 v20, -v7, v18, v12
	v_fma_f32 v21, -v14, v19, v17
	v_fmac_f32_e32 v18, v20, v15
	v_fmac_f32_e32 v19, v21, v16
	v_fma_f32 v7, -v7, v18, v12
	v_fma_f32 v14, -v14, v19, v17
	v_div_fmas_f32 v7, v7, v15, v18
	s_mov_b64 vcc, s[2:3]
	v_div_fixup_f32 v12, v7, v8, v3
	v_div_fmas_f32 v3, v14, v16, v19
	v_div_fixup_f32 v7, v3, v8, v11
	v_mul_f32_e32 v3, v10, v7
	v_cmp_eq_f32_e32 vcc, 0, v12
	s_and_b64 vcc, exec, vcc
	s_waitcnt vmcnt(0)
	v_sub_f32_e32 v8, v13, v0
	v_fma_f32 v8, v12, v8, -v3
	v_sub_f32_e32 v3, v13, v8
	v_add_f32_e32 v3, v10, v3
	global_store_dword v4, v3, s[46:47] offset:-4
	s_cbranch_vccz .LBB1_123
; %bb.119:                              ;   in Loop: Header=BB1_118 Depth=3
	v_mul_f32_e32 v3, v9, v11
	s_cbranch_execnz .LBB1_121
.LBB1_120:                              ;   in Loop: Header=BB1_118 Depth=3
	v_mul_f32_e32 v3, v8, v8
	v_div_scale_f32 v9, s[2:3], v12, v12, v3
	v_rcp_f32_e32 v10, v9
	v_div_scale_f32 v11, vcc, v3, v12, v3
	v_fma_f32 v13, -v9, v10, 1.0
	v_fmac_f32_e32 v10, v13, v10
	v_mul_f32_e32 v13, v11, v10
	v_fma_f32 v14, -v9, v13, v11
	v_fmac_f32_e32 v13, v14, v10
	v_fma_f32 v9, -v9, v13, v11
	v_div_fmas_f32 v9, v9, v10, v13
	v_div_fixup_f32 v3, v9, v12, v3
.LBB1_121:                              ;   in Loop: Header=BB1_118 Depth=3
	s_add_i32 s16, s16, 1
	s_add_i32 s2, s38, s16
	s_add_u32 s44, s44, 4
	s_addc_u32 s45, s45, 0
	s_add_u32 s46, s46, 4
	s_addc_u32 s47, s47, 0
	s_cmp_ge_i32 s2, s34
	s_cbranch_scc1 .LBB1_127
; %bb.122:                              ;   in Loop: Header=BB1_118 Depth=3
	v_mov_b32_e32 v9, v12
	v_mov_b32_e32 v10, v8
	global_load_dword v11, v4, s[44:45]
	s_cmp_eq_u32 s16, 0
	s_waitcnt vmcnt(0)
	v_add_f32_e32 v8, v3, v11
	s_cbranch_scc0 .LBB1_117
	s_branch .LBB1_118
.LBB1_123:                              ;   in Loop: Header=BB1_118 Depth=3
                                        ; implicit-def: $vgpr3
	s_branch .LBB1_120
.LBB1_124:                              ;   in Loop: Header=BB1_103 Depth=2
                                        ; implicit-def: $sgpr2
	s_cbranch_execz .LBB1_102
	s_branch .LBB1_148
.LBB1_125:                              ;   in Loop: Header=BB1_103 Depth=2
	s_mov_b64 s[42:43], 0
                                        ; implicit-def: $sgpr2
                                        ; implicit-def: $sgpr16
                                        ; implicit-def: $sgpr35
	s_cbranch_execnz .LBB1_130
	s_branch .LBB1_147
.LBB1_126:                              ;   in Loop: Header=BB1_103 Depth=2
	v_mov_b32_e32 v8, v10
.LBB1_127:                              ;   in Loop: Header=BB1_103 Depth=2
	v_mov_b32_e32 v9, v3
.LBB1_128:                              ;   in Loop: Header=BB1_103 Depth=2
	v_mul_f32_e32 v3, v9, v7
	v_add_f32_e32 v0, v0, v8
	s_add_i32 s35, s74, 1
	global_store_dword v4, v3, s[42:43]
	global_store_dword v4, v0, s[36:37]
	s_mov_b64 s[42:43], -1
.LBB1_129:                              ;   in Loop: Header=BB1_103 Depth=2
	s_mov_b32 s2, s20
	s_mov_b32 s16, s34
	s_and_b64 vcc, exec, s[40:41]
	s_cbranch_vccz .LBB1_147
.LBB1_130:                              ;   in Loop: Header=BB1_103 Depth=2
	s_ashr_i32 s39, s38, 31
	s_lshl_b64 s[2:3], s[38:39], 2
	s_add_u32 s38, s14, s2
	s_addc_u32 s39, s15, s3
	global_load_dword v0, v4, s[38:39]
	s_add_u32 s40, s54, s2
	s_addc_u32 s41, s55, s3
	global_load_dword v3, v4, s[40:41]
	s_waitcnt vmcnt(1)
	v_mul_f32_e32 v7, 0x4f800000, v0
	v_cmp_gt_f32_e32 vcc, s71, v0
	v_cndmask_b32_e32 v0, v0, v7, vcc
	v_sqrt_f32_e32 v7, v0
	s_waitcnt vmcnt(0)
	v_sub_f32_e32 v8, v2, v3
	v_add_u32_e32 v9, -1, v7
	v_add_u32_e32 v10, 1, v7
	v_fma_f32 v11, -v9, v7, v0
	v_fma_f32 v12, -v10, v7, v0
	v_cmp_ge_f32_e64 s[2:3], 0, v11
	v_cndmask_b32_e64 v7, v7, v9, s[2:3]
	v_cmp_lt_f32_e64 s[2:3], 0, v12
	v_cndmask_b32_e64 v7, v7, v10, s[2:3]
	v_mul_f32_e32 v9, 0x37800000, v7
	v_cndmask_b32_e32 v7, v7, v9, vcc
	v_cmp_class_f32_e32 vcc, v0, v5
	v_cndmask_b32_e32 v7, v7, v0, vcc
	v_add_f32_e32 v9, v7, v7
	v_cmp_ngt_f32_e64 s[2:3], |v8|, |v9|
	v_and_b32_e32 v10, 0x7fffffff, v9
	s_and_b64 vcc, exec, s[2:3]
	s_cbranch_vccz .LBB1_133
; %bb.131:                              ;   in Loop: Header=BB1_103 Depth=2
	v_cmp_nlt_f32_e64 s[2:3], |v8|, |v9|
	s_and_b64 vcc, exec, s[2:3]
	s_cbranch_vccz .LBB1_134
; %bb.132:                              ;   in Loop: Header=BB1_103 Depth=2
	v_cvt_f64_f32_e32 v[12:13], v10
	v_mul_f64 v[12:13], v[12:13], s[18:19]
	v_cvt_f32_f64_e32 v0, v[12:13]
	s_cbranch_execz .LBB1_135
	s_branch .LBB1_136
.LBB1_133:                              ;   in Loop: Header=BB1_103 Depth=2
                                        ; implicit-def: $vgpr0
	s_branch .LBB1_137
.LBB1_134:                              ;   in Loop: Header=BB1_103 Depth=2
                                        ; implicit-def: $vgpr0
.LBB1_135:                              ;   in Loop: Header=BB1_103 Depth=2
	v_and_b32_e32 v0, 0x7fffffff, v8
	v_div_scale_f32 v11, s[2:3], v10, v10, v0
	v_rcp_f32_e32 v12, v11
	v_div_scale_f32 v0, vcc, v0, v10, v0
	v_fma_f32 v13, -v11, v12, 1.0
	v_fmac_f32_e32 v12, v13, v12
	v_mul_f32_e32 v13, v0, v12
	v_fma_f32 v14, -v11, v13, v0
	v_fmac_f32_e32 v13, v14, v12
	v_fma_f32 v0, -v11, v13, v0
	v_div_fmas_f32 v0, v0, v12, v13
	v_div_fixup_f32 v0, v0, |v9|, |v8|
	v_fma_f32 v0, v0, v0, 1.0
	v_mul_f32_e32 v11, 0x4f800000, v0
	v_cmp_gt_f32_e32 vcc, s71, v0
	v_cndmask_b32_e32 v0, v0, v11, vcc
	v_sqrt_f32_e32 v11, v0
	v_add_u32_e32 v12, -1, v11
	v_fma_f32 v13, -v12, v11, v0
	v_cmp_ge_f32_e64 s[2:3], 0, v13
	v_add_u32_e32 v13, 1, v11
	v_cndmask_b32_e64 v12, v11, v12, s[2:3]
	v_fma_f32 v11, -v13, v11, v0
	v_cmp_lt_f32_e64 s[2:3], 0, v11
	v_cndmask_b32_e64 v11, v12, v13, s[2:3]
	v_mul_f32_e32 v12, 0x37800000, v11
	v_cndmask_b32_e32 v11, v11, v12, vcc
	v_cmp_class_f32_e32 vcc, v0, v5
	v_cndmask_b32_e32 v0, v11, v0, vcc
	v_mul_f32_e64 v0, |v9|, v0
.LBB1_136:                              ;   in Loop: Header=BB1_103 Depth=2
	s_cbranch_execnz .LBB1_138
.LBB1_137:                              ;   in Loop: Header=BB1_103 Depth=2
	v_and_b32_e32 v0, 0x7fffffff, v8
	v_div_scale_f32 v11, s[2:3], v0, v0, v10
	v_rcp_f32_e32 v12, v11
	v_div_scale_f32 v0, vcc, v10, v0, v10
	v_fma_f32 v10, -v11, v12, 1.0
	v_fmac_f32_e32 v12, v10, v12
	v_mul_f32_e32 v10, v0, v12
	v_fma_f32 v13, -v11, v10, v0
	v_fmac_f32_e32 v10, v13, v12
	v_fma_f32 v0, -v11, v10, v0
	v_div_fmas_f32 v0, v0, v12, v10
	v_div_fixup_f32 v0, v0, |v8|, |v9|
	v_fma_f32 v0, v0, v0, 1.0
	v_mul_f32_e32 v9, 0x4f800000, v0
	v_cmp_gt_f32_e32 vcc, s71, v0
	v_cndmask_b32_e32 v0, v0, v9, vcc
	v_sqrt_f32_e32 v9, v0
	v_add_u32_e32 v10, -1, v9
	v_fma_f32 v11, -v10, v9, v0
	v_cmp_ge_f32_e64 s[2:3], 0, v11
	v_add_u32_e32 v11, 1, v9
	v_cndmask_b32_e64 v10, v9, v10, s[2:3]
	v_fma_f32 v9, -v11, v9, v0
	v_cmp_lt_f32_e64 s[2:3], 0, v9
	v_cndmask_b32_e64 v9, v10, v11, s[2:3]
	v_mul_f32_e32 v10, 0x37800000, v9
	v_cndmask_b32_e32 v9, v9, v10, vcc
	v_cmp_class_f32_e32 vcc, v0, v5
	v_cndmask_b32_e32 v0, v9, v0, vcc
	v_mul_f32_e64 v0, |v8|, v0
.LBB1_138:                              ;   in Loop: Header=BB1_103 Depth=2
	v_add_f32_e32 v9, v2, v3
	v_cmp_gt_f32_e64 vcc, |v2|, |v3|
	v_cndmask_b32_e32 v8, v2, v3, vcc
	v_cndmask_b32_e32 v10, v3, v2, vcc
	v_cmp_ngt_f32_e32 vcc, 0, v9
	s_cbranch_vccz .LBB1_141
; %bb.139:                              ;   in Loop: Header=BB1_103 Depth=2
	v_cmp_nlt_f32_e32 vcc, 0, v9
	s_cbranch_vccz .LBB1_142
; %bb.140:                              ;   in Loop: Header=BB1_103 Depth=2
	v_pk_mul_f32 v[2:3], v[0:1], s[24:25] op_sel_hi:[0,1]
	s_cbranch_execz .LBB1_143
	s_branch .LBB1_144
.LBB1_141:                              ;   in Loop: Header=BB1_103 Depth=2
                                        ; implicit-def: $vgpr3
	s_branch .LBB1_145
.LBB1_142:                              ;   in Loop: Header=BB1_103 Depth=2
                                        ; implicit-def: $vgpr3
.LBB1_143:                              ;   in Loop: Header=BB1_103 Depth=2
	v_add_f32_e32 v2, v9, v0
	v_mul_f32_e32 v2, 0.5, v2
	v_cvt_f64_f32_e32 v[12:13], v10
	v_cvt_f64_f32_e32 v[14:15], v2
	v_div_scale_f64 v[16:17], s[2:3], v[14:15], v[14:15], v[12:13]
	v_rcp_f64_e32 v[18:19], v[16:17]
	v_fma_f64 v[20:21], -v[16:17], v[18:19], 1.0
	v_fmac_f64_e32 v[18:19], v[18:19], v[20:21]
	v_fma_f64 v[20:21], -v[16:17], v[18:19], 1.0
	v_fmac_f64_e32 v[18:19], v[18:19], v[20:21]
	v_div_scale_f64 v[20:21], vcc, v[12:13], v[14:15], v[12:13]
	v_mul_f64 v[22:23], v[20:21], v[18:19]
	v_fma_f64 v[16:17], -v[16:17], v[22:23], v[20:21]
	v_cvt_f64_f32_e32 v[20:21], v7
	v_div_scale_f64 v[24:25], s[2:3], v[14:15], v[14:15], v[20:21]
	v_rcp_f64_e32 v[26:27], v[24:25]
	v_div_fmas_f64 v[16:17], v[16:17], v[18:19], v[22:23]
	v_div_fixup_f64 v[12:13], v[16:17], v[14:15], v[12:13]
	v_cvt_f64_f32_e32 v[16:17], v8
	v_fma_f64 v[18:19], -v[24:25], v[26:27], 1.0
	v_fmac_f64_e32 v[26:27], v[26:27], v[18:19]
	v_fma_f64 v[18:19], -v[24:25], v[26:27], 1.0
	v_fmac_f64_e32 v[26:27], v[26:27], v[18:19]
	v_div_scale_f64 v[18:19], vcc, v[20:21], v[14:15], v[20:21]
	v_mul_f64 v[22:23], v[18:19], v[26:27]
	v_fma_f64 v[18:19], -v[24:25], v[22:23], v[18:19]
	s_nop 1
	v_div_fmas_f64 v[18:19], v[18:19], v[26:27], v[22:23]
	v_div_fixup_f64 v[14:15], v[18:19], v[14:15], v[20:21]
	v_mul_f64 v[14:15], v[14:15], v[20:21]
	v_fma_f64 v[12:13], v[12:13], v[16:17], -v[14:15]
	v_cvt_f32_f64_e32 v3, v[12:13]
.LBB1_144:                              ;   in Loop: Header=BB1_103 Depth=2
	s_cbranch_execnz .LBB1_146
.LBB1_145:                              ;   in Loop: Header=BB1_103 Depth=2
	v_sub_f32_e32 v0, v9, v0
	v_mul_f32_e32 v2, 0.5, v0
	v_cvt_f64_f32_e32 v[10:11], v10
	v_cvt_f64_f32_e32 v[12:13], v2
	v_div_scale_f64 v[14:15], s[2:3], v[12:13], v[12:13], v[10:11]
	v_rcp_f64_e32 v[16:17], v[14:15]
	v_cvt_f64_f32_e32 v[8:9], v8
	v_fma_f64 v[18:19], -v[14:15], v[16:17], 1.0
	v_fmac_f64_e32 v[16:17], v[16:17], v[18:19]
	v_fma_f64 v[18:19], -v[14:15], v[16:17], 1.0
	v_fmac_f64_e32 v[16:17], v[16:17], v[18:19]
	v_div_scale_f64 v[18:19], vcc, v[10:11], v[12:13], v[10:11]
	v_mul_f64 v[20:21], v[18:19], v[16:17]
	v_fma_f64 v[14:15], -v[14:15], v[20:21], v[18:19]
	v_cvt_f64_f32_e32 v[18:19], v7
	v_div_scale_f64 v[22:23], s[2:3], v[12:13], v[12:13], v[18:19]
	v_rcp_f64_e32 v[24:25], v[22:23]
	v_div_fmas_f64 v[14:15], v[14:15], v[16:17], v[20:21]
	v_div_fixup_f64 v[10:11], v[14:15], v[12:13], v[10:11]
	v_fma_f64 v[14:15], -v[22:23], v[24:25], 1.0
	v_fmac_f64_e32 v[24:25], v[24:25], v[14:15]
	v_fma_f64 v[14:15], -v[22:23], v[24:25], 1.0
	v_fmac_f64_e32 v[24:25], v[24:25], v[14:15]
	v_div_scale_f64 v[14:15], vcc, v[18:19], v[12:13], v[18:19]
	v_mul_f64 v[16:17], v[14:15], v[24:25]
	v_fma_f64 v[14:15], -v[22:23], v[16:17], v[14:15]
	s_nop 1
	v_div_fmas_f64 v[14:15], v[14:15], v[24:25], v[16:17]
	v_div_fixup_f64 v[12:13], v[14:15], v[12:13], v[18:19]
	v_mul_f64 v[12:13], v[12:13], v[18:19]
	v_fma_f64 v[8:9], v[10:11], v[8:9], -v[12:13]
	v_cvt_f32_f64_e32 v3, v[8:9]
.LBB1_146:                              ;   in Loop: Header=BB1_103 Depth=2
	s_add_i32 s16, s34, -2
	s_mov_b64 s[42:43], -1
	s_mov_b32 s35, s74
	global_store_dword v4, v2, s[36:37]
	global_store_dword v4, v3, s[40:41]
	;; [unrolled: 1-line block ×3, first 2 shown]
                                        ; implicit-def: $sgpr2
.LBB1_147:                              ;   in Loop: Header=BB1_103 Depth=2
	s_mov_b32 s74, s35
	s_and_b64 vcc, exec, s[42:43]
	s_cbranch_vccz .LBB1_102
.LBB1_148:                              ;   in Loop: Header=BB1_103 Depth=2
	s_cmp_lt_i32 s16, s75
	s_cselect_b64 s[2:3], -1, 0
	s_cmp_ge_i32 s74, s20
	s_cselect_b64 s[8:9], -1, 0
	s_or_b64 s[8:9], s[2:3], s[8:9]
	s_mov_b32 s2, s74
	s_branch .LBB1_102
.LBB1_149:                              ;   in Loop: Header=BB1_4 Depth=1
	s_mov_b32 s74, s2
.LBB1_150:                              ;   in Loop: Header=BB1_4 Depth=1
	s_mov_b32 s41, s74
	v_cmp_lt_f32_e32 vcc, s23, v6
	s_andn2_b64 vcc, exec, vcc
	s_cbranch_vccnz .LBB1_154
.LBB1_151:                              ;   in Loop: Header=BB1_4 Depth=1
	global_load_dword v2, v4, s[30:31]
	v_div_scale_f32 v0, s[2:3], v6, v6, s23
	v_rcp_f32_e32 v3, v0
	v_div_scale_f32 v7, vcc, s23, v6, s23
	v_fma_f32 v8, -v0, v3, 1.0
	v_fmac_f32_e32 v3, v8, v3
	v_mul_f32_e32 v8, v7, v3
	v_fma_f32 v9, -v0, v8, v7
	v_fmac_f32_e32 v8, v9, v3
	v_fma_f32 v0, -v0, v8, v7
	v_div_fmas_f32 v0, v0, v3, v8
	v_div_fixup_f32 v0, v0, v6, s23
	s_and_b64 vcc, exec, s[0:1]
	s_waitcnt vmcnt(0)
	v_mul_f32_e32 v2, v0, v2
	global_store_dword v4, v2, s[30:31]
	s_cbranch_vccnz .LBB1_154
; %bb.152:                              ;   in Loop: Header=BB1_4 Depth=1
	s_add_u32 s2, s65, s28
	s_addc_u32 s3, s66, s29
	s_add_u32 s8, s61, s28
	s_addc_u32 s9, s62, s29
	s_mov_b32 s16, s27
.LBB1_153:                              ;   Parent Loop BB1_4 Depth=1
                                        ; =>  This Inner Loop Header: Depth=2
	global_load_dword v2, v4, s[2:3]
	s_add_i32 s16, s16, 1
	s_waitcnt vmcnt(0)
	v_mul_f32_e32 v2, v0, v2
	global_store_dword v4, v2, s[2:3]
	global_load_dword v2, v4, s[8:9]
	s_add_u32 s2, s2, 4
	s_addc_u32 s3, s3, 0
	s_waitcnt vmcnt(0)
	v_mul_f32_e32 v2, v0, v2
	global_store_dword v4, v2, s[8:9]
	s_add_u32 s8, s8, 4
	s_addc_u32 s9, s9, 0
	s_cmp_lt_i32 s16, s26
	s_cbranch_scc1 .LBB1_153
.LBB1_154:                              ;   in Loop: Header=BB1_4 Depth=1
	v_cmp_ngt_f32_e32 vcc, s22, v6
	s_cbranch_vccnz .LBB1_2
; %bb.155:                              ;   in Loop: Header=BB1_4 Depth=1
	global_load_dword v2, v4, s[30:31]
	v_div_scale_f32 v0, s[2:3], v6, v6, s22
	v_rcp_f32_e32 v3, v0
	v_div_scale_f32 v7, vcc, s22, v6, s22
	v_fma_f32 v8, -v0, v3, 1.0
	v_fmac_f32_e32 v3, v8, v3
	v_mul_f32_e32 v8, v7, v3
	v_fma_f32 v9, -v0, v8, v7
	v_fmac_f32_e32 v8, v9, v3
	v_fma_f32 v0, -v0, v8, v7
	v_div_fmas_f32 v0, v0, v3, v8
	v_div_fixup_f32 v0, v0, v6, s22
	s_and_b64 vcc, exec, s[0:1]
	s_waitcnt vmcnt(0)
	v_mul_f32_e32 v2, v0, v2
	global_store_dword v4, v2, s[30:31]
	s_cbranch_vccnz .LBB1_2
; %bb.156:                              ;   in Loop: Header=BB1_4 Depth=1
	s_add_u32 s0, s65, s28
	s_addc_u32 s1, s66, s29
	s_add_u32 s2, s61, s28
	s_addc_u32 s3, s62, s29
.LBB1_157:                              ;   Parent Loop BB1_4 Depth=1
                                        ; =>  This Inner Loop Header: Depth=2
	global_load_dword v2, v4, s[0:1]
	s_add_i32 s27, s27, 1
	s_waitcnt vmcnt(0)
	v_mul_f32_e32 v2, v0, v2
	global_store_dword v4, v2, s[0:1]
	global_load_dword v2, v4, s[2:3]
	s_add_u32 s0, s0, 4
	s_addc_u32 s1, s1, 0
	s_waitcnt vmcnt(0)
	v_mul_f32_e32 v2, v0, v2
	global_store_dword v4, v2, s[2:3]
	s_add_u32 s2, s2, 4
	s_addc_u32 s3, s3, 0
	s_cmp_lt_i32 s27, s26
	s_cbranch_scc1 .LBB1_157
	s_branch .LBB1_2
.LBB1_158:
	s_cmp_lt_i32 s33, 2
	s_cbranch_scc1 .LBB1_169
; %bb.159:
	s_load_dwordx2 s[0:1], s[4:5], 0x28
	s_lshl_b64 s[4:5], s[6:7], 2
	s_mov_b32 s2, 1
	v_mov_b32_e32 v0, 0
	s_waitcnt lgkmcnt(0)
	s_add_u32 s0, s0, s4
	s_addc_u32 s1, s1, s5
	s_branch .LBB1_161
.LBB1_160:                              ;   in Loop: Header=BB1_161 Depth=1
	s_add_i32 s2, s2, 1
	s_add_u32 s14, s14, 4
	s_addc_u32 s15, s15, 0
	s_cmp_lg_u32 s33, s2
	s_cbranch_scc0 .LBB1_163
.LBB1_161:                              ; =>This Inner Loop Header: Depth=1
	global_load_dword v1, v0, s[14:15]
	s_waitcnt vmcnt(0)
	v_cmp_eq_f32_e32 vcc, 0, v1
	s_cbranch_vccnz .LBB1_160
; %bb.162:                              ;   in Loop: Header=BB1_161 Depth=1
	global_load_dword v1, v0, s[0:1]
	s_waitcnt vmcnt(0)
	v_add_u32_e32 v1, 1, v1
	global_store_dword v0, v1, s[0:1]
	s_branch .LBB1_160
.LBB1_163:
	s_add_u32 s14, s54, -4
	s_addc_u32 s15, s55, -1
	s_add_u32 s0, s10, s12
	s_addc_u32 s1, s11, s13
	s_add_u32 s0, s0, 4
	s_addc_u32 s1, s1, 0
	s_mov_b32 s2, 1
	v_mov_b32_e32 v0, 0
	s_branch .LBB1_165
.LBB1_164:                              ;   in Loop: Header=BB1_165 Depth=1
	s_add_i32 s2, s2, 1
	s_add_u32 s0, s0, 4
	s_addc_u32 s1, s1, 0
	s_cmp_lg_u32 s2, s33
	s_cbranch_scc0 .LBB1_169
.LBB1_165:                              ; =>This Loop Header: Depth=1
                                        ;     Child Loop BB1_166 Depth 2
	s_ashr_i32 s3, s2, 31
	s_add_i32 s7, s2, -1
	s_lshl_b64 s[4:5], s[2:3], 2
	s_add_u32 s4, s14, s4
	s_addc_u32 s5, s15, s5
	global_load_dword v1, v0, s[4:5]
	s_mov_b64 s[8:9], s[0:1]
	s_mov_b32 s3, s2
	s_mov_b32 s6, s7
	s_waitcnt vmcnt(0)
	v_mov_b32_e32 v2, v1
.LBB1_166:                              ;   Parent Loop BB1_165 Depth=1
                                        ; =>  This Inner Loop Header: Depth=2
	global_load_dword v3, v0, s[8:9]
	s_waitcnt vmcnt(0)
	v_cmp_lt_f32_e32 vcc, v3, v2
	s_and_b64 s[10:11], vcc, exec
	s_cselect_b32 s6, s3, s6
	s_add_i32 s3, s3, 1
	s_add_u32 s8, s8, 4
	s_addc_u32 s9, s9, 0
	v_cndmask_b32_e32 v2, v2, v3, vcc
	s_cmp_ge_i32 s3, s33
	s_cbranch_scc0 .LBB1_166
; %bb.167:                              ;   in Loop: Header=BB1_165 Depth=1
	s_cmp_lg_u32 s6, s7
	s_cbranch_scc0 .LBB1_164
; %bb.168:                              ;   in Loop: Header=BB1_165 Depth=1
	s_ashr_i32 s7, s6, 31
	s_lshl_b64 s[6:7], s[6:7], 2
	s_add_u32 s6, s54, s6
	s_addc_u32 s7, s55, s7
	global_store_dword v0, v1, s[6:7]
	global_store_dword v0, v2, s[4:5]
	s_branch .LBB1_164
.LBB1_169:
	s_endpgm
	.section	.rodata,"a",@progbits
	.p2align	6, 0x0
	.amdhsa_kernel _ZN9rocsolver6v33100L12sterf_kernelIfEEviPT_lS3_lPiS4_iS2_S2_S2_
		.amdhsa_group_segment_fixed_size 0
		.amdhsa_private_segment_fixed_size 0
		.amdhsa_kernarg_size 72
		.amdhsa_user_sgpr_count 6
		.amdhsa_user_sgpr_private_segment_buffer 1
		.amdhsa_user_sgpr_dispatch_ptr 0
		.amdhsa_user_sgpr_queue_ptr 0
		.amdhsa_user_sgpr_kernarg_segment_ptr 1
		.amdhsa_user_sgpr_dispatch_id 0
		.amdhsa_user_sgpr_flat_scratch_init 0
		.amdhsa_user_sgpr_kernarg_preload_length 0
		.amdhsa_user_sgpr_kernarg_preload_offset 0
		.amdhsa_user_sgpr_private_segment_size 0
		.amdhsa_uses_dynamic_stack 0
		.amdhsa_system_sgpr_private_segment_wavefront_offset 0
		.amdhsa_system_sgpr_workgroup_id_x 1
		.amdhsa_system_sgpr_workgroup_id_y 0
		.amdhsa_system_sgpr_workgroup_id_z 0
		.amdhsa_system_sgpr_workgroup_info 0
		.amdhsa_system_vgpr_workitem_id 0
		.amdhsa_next_free_vgpr 28
		.amdhsa_next_free_sgpr 76
		.amdhsa_accum_offset 28
		.amdhsa_reserve_vcc 1
		.amdhsa_reserve_flat_scratch 0
		.amdhsa_float_round_mode_32 0
		.amdhsa_float_round_mode_16_64 0
		.amdhsa_float_denorm_mode_32 3
		.amdhsa_float_denorm_mode_16_64 3
		.amdhsa_dx10_clamp 1
		.amdhsa_ieee_mode 1
		.amdhsa_fp16_overflow 0
		.amdhsa_tg_split 0
		.amdhsa_exception_fp_ieee_invalid_op 0
		.amdhsa_exception_fp_denorm_src 0
		.amdhsa_exception_fp_ieee_div_zero 0
		.amdhsa_exception_fp_ieee_overflow 0
		.amdhsa_exception_fp_ieee_underflow 0
		.amdhsa_exception_fp_ieee_inexact 0
		.amdhsa_exception_int_div_zero 0
	.end_amdhsa_kernel
	.section	.text._ZN9rocsolver6v33100L12sterf_kernelIfEEviPT_lS3_lPiS4_iS2_S2_S2_,"axG",@progbits,_ZN9rocsolver6v33100L12sterf_kernelIfEEviPT_lS3_lPiS4_iS2_S2_S2_,comdat
.Lfunc_end1:
	.size	_ZN9rocsolver6v33100L12sterf_kernelIfEEviPT_lS3_lPiS4_iS2_S2_S2_, .Lfunc_end1-_ZN9rocsolver6v33100L12sterf_kernelIfEEviPT_lS3_lPiS4_iS2_S2_S2_
                                        ; -- End function
	.section	.AMDGPU.csdata,"",@progbits
; Kernel info:
; codeLenInByte = 7760
; NumSgprs: 80
; NumVgprs: 28
; NumAgprs: 0
; TotalNumVgprs: 28
; ScratchSize: 0
; MemoryBound: 0
; FloatMode: 240
; IeeeMode: 1
; LDSByteSize: 0 bytes/workgroup (compile time only)
; SGPRBlocks: 9
; VGPRBlocks: 3
; NumSGPRsForWavesPerEU: 80
; NumVGPRsForWavesPerEU: 28
; AccumOffset: 28
; Occupancy: 8
; WaveLimiterHint : 0
; COMPUTE_PGM_RSRC2:SCRATCH_EN: 0
; COMPUTE_PGM_RSRC2:USER_SGPR: 6
; COMPUTE_PGM_RSRC2:TRAP_HANDLER: 0
; COMPUTE_PGM_RSRC2:TGID_X_EN: 1
; COMPUTE_PGM_RSRC2:TGID_Y_EN: 0
; COMPUTE_PGM_RSRC2:TGID_Z_EN: 0
; COMPUTE_PGM_RSRC2:TIDIG_COMP_CNT: 0
; COMPUTE_PGM_RSRC3_GFX90A:ACCUM_OFFSET: 6
; COMPUTE_PGM_RSRC3_GFX90A:TG_SPLIT: 0
	.section	.text._ZN9rocsolver6v33100L12sterf_kernelIdEEviPT_lS3_lPiS4_iS2_S2_S2_,"axG",@progbits,_ZN9rocsolver6v33100L12sterf_kernelIdEEviPT_lS3_lPiS4_iS2_S2_S2_,comdat
	.globl	_ZN9rocsolver6v33100L12sterf_kernelIdEEviPT_lS3_lPiS4_iS2_S2_S2_ ; -- Begin function _ZN9rocsolver6v33100L12sterf_kernelIdEEviPT_lS3_lPiS4_iS2_S2_S2_
	.p2align	8
	.type	_ZN9rocsolver6v33100L12sterf_kernelIdEEviPT_lS3_lPiS4_iS2_S2_S2_,@function
_ZN9rocsolver6v33100L12sterf_kernelIdEEviPT_lS3_lPiS4_iS2_S2_S2_: ; @_ZN9rocsolver6v33100L12sterf_kernelIdEEviPT_lS3_lPiS4_iS2_S2_S2_
; %bb.0:
	s_load_dwordx8 s[12:19], s[4:5], 0x8
	s_load_dword s33, s[4:5], 0x0
	s_load_dword s58, s[4:5], 0x38
	s_ashr_i32 s7, s6, 31
	s_waitcnt lgkmcnt(0)
	s_mul_i32 s0, s6, s15
	s_mul_hi_u32 s1, s6, s14
	s_add_i32 s0, s1, s0
	s_mul_i32 s1, s7, s14
	s_add_i32 s1, s0, s1
	s_mul_i32 s0, s6, s14
	s_lshl_b64 s[10:11], s[0:1], 3
	s_add_u32 s56, s12, s10
	s_mul_i32 s0, s6, s19
	s_mul_hi_u32 s1, s6, s18
	s_addc_u32 s57, s13, s11
	s_add_i32 s0, s1, s0
	s_mul_i32 s1, s7, s18
	s_add_i32 s1, s0, s1
	s_mul_i32 s0, s6, s18
	s_lshl_b64 s[0:1], s[0:1], 3
	s_add_u32 s14, s16, s0
	s_addc_u32 s15, s17, s1
	s_min_i32 s2, s33, s58
	s_cmp_lt_i32 s2, 1
	s_cbranch_scc1 .LBB2_152
; %bb.1:
	s_add_i32 s59, s33, -1
	s_add_u32 s60, s14, -8
	s_addc_u32 s61, s15, -1
	s_add_u32 s62, s56, -8
	s_addc_u32 s63, s57, -1
	s_add_u32 s64, s16, s0
	s_addc_u32 s65, s17, s1
	s_add_u32 s66, s64, -8
	s_addc_u32 s67, s65, -1
	s_add_u32 s68, s12, s10
	s_load_dwordx4 s[20:23], s[4:5], 0x40
	s_load_dwordx2 s[18:19], s[4:5], 0x50
	s_addc_u32 s69, s13, s11
	s_add_u32 s70, s68, 8
	s_addc_u32 s71, s69, 0
	s_add_u32 s72, s64, 8
	s_mov_b32 s24, 0
	s_mov_b32 s26, 0x667f3bcd
	s_waitcnt lgkmcnt(0)
	v_mul_f64 v[0:1], s[20:21], s[20:21]
	s_addc_u32 s73, s65, 0
	s_mov_b32 s17, 0
	v_mov_b32_e32 v2, 0
	s_brev_b32 s25, 8
	v_mov_b32_e32 v24, 0x260
	s_mov_b32 s27, 0x3ff6a09e
	s_mov_b32 s74, 0
	;; [unrolled: 1-line block ×3, first 2 shown]
	s_branch .LBB2_4
.LBB2_2:                                ;   in Loop: Header=BB2_4 Depth=1
	s_cmp_ge_i32 s37, s58
	s_cselect_b64 s[0:1], -1, 0
	s_cmp_ge_i32 s74, s33
	s_cselect_b64 s[2:3], -1, 0
	s_or_b64 s[0:1], s[2:3], s[0:1]
.LBB2_3:                                ;   in Loop: Header=BB2_4 Depth=1
	s_and_b64 vcc, exec, s[0:1]
	s_mov_b32 s75, s37
	s_cbranch_vccnz .LBB2_152
.LBB2_4:                                ; =>This Loop Header: Depth=1
                                        ;     Child Loop BB2_6 Depth 2
                                        ;       Child Loop BB2_12 Depth 3
                                        ;       Child Loop BB2_19 Depth 3
                                        ;     Child Loop BB2_36 Depth 2
                                        ;     Child Loop BB2_30 Depth 2
	;; [unrolled: 1-line block ×4, first 2 shown]
                                        ;       Child Loop BB2_51 Depth 3
                                        ;       Child Loop BB2_63 Depth 3
                                        ;     Child Loop BB2_97 Depth 2
                                        ;       Child Loop BB2_99 Depth 3
                                        ;       Child Loop BB2_112 Depth 3
                                        ;     Child Loop BB2_147 Depth 2
                                        ;     Child Loop BB2_151 Depth 2
	s_mov_b32 s0, s74
	s_branch .LBB2_6
.LBB2_5:                                ;   in Loop: Header=BB2_6 Depth=2
	s_andn2_b64 vcc, exec, s[34:35]
	s_mov_b32 s0, s74
	s_cbranch_vccz .LBB2_25
.LBB2_6:                                ;   Parent Loop BB2_4 Depth=1
                                        ; =>  This Loop Header: Depth=2
                                        ;       Child Loop BB2_12 Depth 3
                                        ;       Child Loop BB2_19 Depth 3
	s_cmp_gt_i32 s0, 0
	s_mov_b64 s[8:9], -1
                                        ; implicit-def: $sgpr2_sgpr3
	s_cbranch_scc1 .LBB2_8
; %bb.7:                                ;   in Loop: Header=BB2_6 Depth=2
	s_mov_b32 s1, s17
	s_mov_b64 s[8:9], 0
	s_mov_b64 s[2:3], s[0:1]
.LBB2_8:                                ;   in Loop: Header=BB2_6 Depth=2
	s_andn2_b64 vcc, exec, s[8:9]
	s_cbranch_vccnz .LBB2_10
; %bb.9:                                ;   in Loop: Header=BB2_6 Depth=2
	s_mov_b32 s1, s17
	s_lshl_b64 s[2:3], s[0:1], 3
	s_add_u32 s2, s60, s2
	s_addc_u32 s3, s61, s3
	v_mov_b32_e32 v3, v2
	global_store_dwordx2 v2, v[2:3], s[2:3]
	s_mov_b64 s[2:3], s[0:1]
.LBB2_10:                               ;   in Loop: Header=BB2_6 Depth=2
	s_lshl_b64 s[28:29], s[2:3], 3
	s_add_u32 s34, s66, s28
	s_addc_u32 s35, s67, s29
	s_add_u32 s8, s70, s28
	s_addc_u32 s9, s71, s29
	s_mov_b32 s74, s0
	s_branch .LBB2_12
.LBB2_11:                               ;   in Loop: Header=BB2_12 Depth=3
	s_andn2_b64 vcc, exec, s[38:39]
	s_cbranch_vccz .LBB2_14
.LBB2_12:                               ;   Parent Loop BB2_4 Depth=1
                                        ;     Parent Loop BB2_6 Depth=2
                                        ; =>    This Inner Loop Header: Depth=3
	s_mov_b64 s[36:37], -1
	s_mov_b32 s16, s74
	s_cmp_ge_i32 s74, s59
	s_mov_b64 s[38:39], -1
                                        ; implicit-def: $sgpr74
                                        ; implicit-def: $sgpr30_sgpr31
	s_cbranch_scc1 .LBB2_11
; %bb.13:                               ;   in Loop: Header=BB2_12 Depth=3
	global_load_dwordx4 v[4:7], v2, s[8:9] offset:-8
	global_load_dwordx2 v[8:9], v2, s[34:35] offset:8
	s_add_u32 s30, s34, 8
	s_addc_u32 s31, s35, 0
	s_mov_b64 s[36:37], 0
	s_waitcnt vmcnt(1)
	v_cmp_lt_f64_e64 s[34:35], |v[4:5]|, s[24:25]
	v_cndmask_b32_e64 v3, 0, 1, s[34:35]
	v_cmp_lt_f64_e64 s[38:39], |v[6:7]|, s[24:25]
	v_cndmask_b32_e64 v10, 0, 1, s[38:39]
	v_lshlrev_b32_e32 v3, 8, v3
	v_lshlrev_b32_e32 v10, 8, v10
	v_ldexp_f64 v[4:5], |v[4:5]|, v3
	v_ldexp_f64 v[6:7], |v[6:7]|, v10
	v_rsq_f64_e32 v[10:11], v[4:5]
	v_rsq_f64_e32 v[12:13], v[6:7]
	s_and_b64 s[34:35], s[34:35], exec
	s_cselect_b32 s1, 0xffffff80, 0
	v_mul_f64 v[14:15], v[4:5], v[10:11]
	v_mul_f64 v[10:11], v[10:11], 0.5
	v_mul_f64 v[16:17], v[6:7], v[12:13]
	v_mul_f64 v[12:13], v[12:13], 0.5
	v_fma_f64 v[18:19], -v[10:11], v[14:15], 0.5
	v_fma_f64 v[20:21], -v[12:13], v[16:17], 0.5
	v_fmac_f64_e32 v[14:15], v[14:15], v[18:19]
	v_fmac_f64_e32 v[10:11], v[10:11], v[18:19]
	v_fmac_f64_e32 v[16:17], v[16:17], v[20:21]
	v_fma_f64 v[18:19], -v[14:15], v[14:15], v[4:5]
	v_fmac_f64_e32 v[12:13], v[12:13], v[20:21]
	v_fma_f64 v[20:21], -v[16:17], v[16:17], v[6:7]
	v_fmac_f64_e32 v[14:15], v[18:19], v[10:11]
	s_add_i32 s74, s16, 1
	v_fmac_f64_e32 v[16:17], v[20:21], v[12:13]
	v_fma_f64 v[18:19], -v[14:15], v[14:15], v[4:5]
	s_and_b64 s[34:35], s[38:39], exec
	v_fma_f64 v[20:21], -v[16:17], v[16:17], v[6:7]
	v_fmac_f64_e32 v[14:15], v[18:19], v[10:11]
	s_cselect_b32 s34, 0xffffff80, 0
	v_fmac_f64_e32 v[16:17], v[20:21], v[12:13]
	v_ldexp_f64 v[10:11], v[14:15], s1
	v_cmp_class_f64_e32 vcc, v[4:5], v24
	v_ldexp_f64 v[12:13], v[16:17], s34
	v_cndmask_b32_e32 v5, v11, v5, vcc
	v_cndmask_b32_e32 v4, v10, v4, vcc
	v_cmp_class_f64_e32 vcc, v[6:7], v24
	v_cndmask_b32_e32 v7, v13, v7, vcc
	v_cndmask_b32_e32 v6, v12, v6, vcc
	v_mul_f64 v[4:5], v[4:5], v[6:7]
	s_add_u32 s8, s8, 8
	v_mul_f64 v[4:5], v[4:5], s[20:21]
	s_addc_u32 s9, s9, 0
	s_waitcnt vmcnt(0)
	v_cmp_le_f64_e64 s[38:39], |v[8:9]|, v[4:5]
	s_mov_b64 s[34:35], s[30:31]
	s_branch .LBB2_11
.LBB2_14:                               ;   in Loop: Header=BB2_6 Depth=2
	s_andn2_b64 vcc, exec, s[36:37]
	s_mov_b64 s[8:9], -1
	s_cbranch_vccnz .LBB2_21
; %bb.15:                               ;   in Loop: Header=BB2_6 Depth=2
	s_andn2_b64 vcc, exec, s[8:9]
	s_cbranch_vccz .LBB2_22
.LBB2_16:                               ;   in Loop: Header=BB2_6 Depth=2
	s_cmp_lg_u32 s16, s0
	s_mov_b64 s[34:35], -1
	s_cbranch_scc0 .LBB2_23
.LBB2_17:                               ;   in Loop: Header=BB2_6 Depth=2
	s_lshl_b64 s[8:9], s[16:17], 3
	s_add_u32 s30, s56, s8
	s_addc_u32 s31, s57, s9
	global_load_dwordx2 v[6:7], v2, s[30:31]
	s_cmp_lt_i32 s0, s16
	s_cselect_b64 s[8:9], -1, 0
	s_cmp_ge_i32 s0, s16
	s_waitcnt vmcnt(0)
	v_and_b32_e32 v5, 0x7fffffff, v7
	v_mov_b32_e32 v4, v6
	s_cbranch_scc1 .LBB2_20
; %bb.18:                               ;   in Loop: Header=BB2_6 Depth=2
	s_add_u32 s36, s68, s28
	s_addc_u32 s37, s69, s29
	s_add_u32 s38, s64, s28
	s_addc_u32 s39, s65, s29
	s_mov_b32 s1, s0
.LBB2_19:                               ;   Parent Loop BB2_4 Depth=1
                                        ;     Parent Loop BB2_6 Depth=2
                                        ; =>    This Inner Loop Header: Depth=3
	global_load_dwordx2 v[8:9], v2, s[38:39]
	global_load_dwordx2 v[10:11], v2, s[36:37]
	s_add_i32 s1, s1, 1
	s_add_u32 s36, s36, 8
	s_addc_u32 s37, s37, 0
	s_add_u32 s38, s38, 8
	v_max_f64 v[4:5], v[4:5], v[4:5]
	s_addc_u32 s39, s39, 0
	s_cmp_lt_i32 s1, s16
	s_waitcnt vmcnt(1)
	v_max_f64 v[8:9], |v[8:9]|, |v[8:9]|
	s_waitcnt vmcnt(0)
	v_max_f64 v[10:11], |v[10:11]|, |v[10:11]|
	v_max_f64 v[8:9], v[10:11], v[8:9]
	v_max_f64 v[4:5], v[4:5], v[8:9]
	s_cbranch_scc1 .LBB2_19
.LBB2_20:                               ;   in Loop: Header=BB2_6 Depth=2
	v_cmp_eq_f64_e64 s[38:39], 0, v[4:5]
	s_mov_b64 s[36:37], -1
	s_and_b64 vcc, exec, s[38:39]
	s_mov_b32 s76, s0
	s_cbranch_vccz .LBB2_5
	s_branch .LBB2_24
.LBB2_21:                               ;   in Loop: Header=BB2_6 Depth=2
	v_mov_b32_e32 v3, v2
	global_store_dwordx2 v2, v[2:3], s[30:31]
	s_cbranch_execnz .LBB2_16
.LBB2_22:                               ;   in Loop: Header=BB2_6 Depth=2
	s_max_i32 s16, s0, s59
	s_add_i32 s74, s16, 1
	s_cmp_lg_u32 s16, s0
	s_mov_b64 s[34:35], -1
	s_cbranch_scc1 .LBB2_17
.LBB2_23:                               ;   in Loop: Header=BB2_6 Depth=2
                                        ; implicit-def: $sgpr36_sgpr37
                                        ; implicit-def: $sgpr30_sgpr31
                                        ; implicit-def: $vgpr6_vgpr7
                                        ; implicit-def: $sgpr8_sgpr9
                                        ; implicit-def: $vgpr4_vgpr5
	s_mov_b32 s76, s0
	s_cbranch_execz .LBB2_5
.LBB2_24:                               ;   in Loop: Header=BB2_6 Depth=2
	s_cmp_ge_i32 s74, s33
	s_mov_b64 s[36:37], 0
	s_cselect_b64 s[34:35], -1, 0
	s_mov_b32 s76, s0
	s_branch .LBB2_5
.LBB2_25:                               ;   in Loop: Header=BB2_4 Depth=1
	s_mov_b64 s[0:1], -1
	s_and_b64 vcc, exec, s[36:37]
                                        ; implicit-def: $sgpr37
	s_cbranch_vccz .LBB2_3
; %bb.26:                               ;   in Loop: Header=BB2_4 Depth=1
	v_cmp_nlt_f64_e32 vcc, s[18:19], v[4:5]
	s_cbranch_vccz .LBB2_32
; %bb.27:                               ;   in Loop: Header=BB2_4 Depth=1
	v_cmp_gt_f64_e32 vcc, s[22:23], v[4:5]
	s_cbranch_vccz .LBB2_33
; %bb.28:                               ;   in Loop: Header=BB2_4 Depth=1
	v_div_scale_f64 v[8:9], s[0:1], s[22:23], s[22:23], v[4:5]
	v_rcp_f64_e32 v[10:11], v[8:9]
	v_div_scale_f64 v[12:13], vcc, v[4:5], s[22:23], v[4:5]
	s_mov_b64 s[0:1], 0
	v_fma_f64 v[14:15], -v[8:9], v[10:11], 1.0
	v_fmac_f64_e32 v[10:11], v[10:11], v[14:15]
	v_fma_f64 v[14:15], -v[8:9], v[10:11], 1.0
	v_fmac_f64_e32 v[10:11], v[10:11], v[14:15]
	v_mul_f64 v[14:15], v[12:13], v[10:11]
	v_fma_f64 v[8:9], -v[8:9], v[14:15], v[12:13]
	v_div_fmas_f64 v[8:9], v[8:9], v[10:11], v[14:15]
	v_div_fixup_f64 v[8:9], v[8:9], s[22:23], v[4:5]
	s_waitcnt vmcnt(0)
	v_mul_f64 v[10:11], v[6:7], v[8:9]
	s_and_b64 vcc, exec, s[8:9]
	global_store_dwordx2 v2, v[10:11], s[30:31]
	s_cbranch_vccz .LBB2_33
; %bb.29:                               ;   in Loop: Header=BB2_4 Depth=1
	s_add_u32 s0, s68, s28
	s_addc_u32 s1, s69, s29
	s_add_u32 s34, s64, s28
	s_addc_u32 s35, s65, s29
	s_mov_b32 s36, s76
.LBB2_30:                               ;   Parent Loop BB2_4 Depth=1
                                        ; =>  This Inner Loop Header: Depth=2
	global_load_dwordx2 v[10:11], v2, s[0:1]
	s_add_i32 s36, s36, 1
	s_waitcnt vmcnt(0)
	v_mul_f64 v[10:11], v[8:9], v[10:11]
	global_store_dwordx2 v2, v[10:11], s[0:1]
	global_load_dwordx2 v[10:11], v2, s[34:35]
	s_add_u32 s0, s0, 8
	s_addc_u32 s1, s1, 0
	s_waitcnt vmcnt(0)
	v_mul_f64 v[10:11], v[8:9], v[10:11]
	global_store_dwordx2 v2, v[10:11], s[34:35]
	s_add_u32 s34, s34, 8
	s_addc_u32 s35, s35, 0
	s_cmp_lt_i32 s36, s16
	s_cbranch_scc1 .LBB2_30
; %bb.31:                               ;   in Loop: Header=BB2_4 Depth=1
	s_mov_b64 s[0:1], -1
	s_branch .LBB2_38
.LBB2_32:                               ;   in Loop: Header=BB2_4 Depth=1
	s_mov_b64 s[0:1], 0
	s_cbranch_execnz .LBB2_34
	s_branch .LBB2_38
.LBB2_33:                               ;   in Loop: Header=BB2_4 Depth=1
	s_branch .LBB2_38
.LBB2_34:                               ;   in Loop: Header=BB2_4 Depth=1
	v_div_scale_f64 v[8:9], s[34:35], s[18:19], s[18:19], v[4:5]
	v_rcp_f64_e32 v[10:11], v[8:9]
	v_div_scale_f64 v[12:13], vcc, v[4:5], s[18:19], v[4:5]
	v_fma_f64 v[14:15], -v[8:9], v[10:11], 1.0
	v_fmac_f64_e32 v[10:11], v[10:11], v[14:15]
	v_fma_f64 v[14:15], -v[8:9], v[10:11], 1.0
	v_fmac_f64_e32 v[10:11], v[10:11], v[14:15]
	v_mul_f64 v[14:15], v[12:13], v[10:11]
	v_fma_f64 v[8:9], -v[8:9], v[14:15], v[12:13]
	v_div_fmas_f64 v[8:9], v[8:9], v[10:11], v[14:15]
	v_div_fixup_f64 v[8:9], v[8:9], s[18:19], v[4:5]
	s_waitcnt vmcnt(0)
	v_mul_f64 v[6:7], v[6:7], v[8:9]
	s_and_b64 vcc, exec, s[8:9]
	global_store_dwordx2 v2, v[6:7], s[30:31]
	s_cbranch_vccz .LBB2_38
; %bb.35:                               ;   in Loop: Header=BB2_4 Depth=1
	s_add_u32 s0, s68, s28
	s_addc_u32 s1, s69, s29
	s_add_u32 s34, s64, s28
	s_addc_u32 s35, s65, s29
	s_mov_b32 s36, s76
.LBB2_36:                               ;   Parent Loop BB2_4 Depth=1
                                        ; =>  This Inner Loop Header: Depth=2
	global_load_dwordx2 v[6:7], v2, s[0:1]
	s_add_i32 s36, s36, 1
	s_waitcnt vmcnt(0)
	v_mul_f64 v[6:7], v[8:9], v[6:7]
	global_store_dwordx2 v2, v[6:7], s[0:1]
	global_load_dwordx2 v[6:7], v2, s[34:35]
	s_add_u32 s0, s0, 8
	s_addc_u32 s1, s1, 0
	s_waitcnt vmcnt(0)
	v_mul_f64 v[6:7], v[8:9], v[6:7]
	global_store_dwordx2 v2, v[6:7], s[34:35]
	s_add_u32 s34, s34, 8
	s_addc_u32 s35, s35, 0
	s_cmp_ge_i32 s36, s16
	s_cbranch_scc0 .LBB2_36
; %bb.37:                               ;   in Loop: Header=BB2_4 Depth=1
	s_mov_b64 s[0:1], -1
.LBB2_38:                               ;   in Loop: Header=BB2_4 Depth=1
	v_cndmask_b32_e64 v3, 0, 1, s[8:9]
	s_and_b64 vcc, exec, s[0:1]
	v_cmp_ne_u32_e64 s[0:1], 1, v3
	s_cbranch_vccz .LBB2_42
; %bb.39:                               ;   in Loop: Header=BB2_4 Depth=1
	s_and_b64 vcc, exec, s[0:1]
	s_cbranch_vccnz .LBB2_42
; %bb.40:                               ;   in Loop: Header=BB2_4 Depth=1
	s_add_u32 s8, s64, s28
	s_addc_u32 s9, s65, s29
	s_mov_b32 s34, s76
.LBB2_41:                               ;   Parent Loop BB2_4 Depth=1
                                        ; =>  This Inner Loop Header: Depth=2
	global_load_dwordx2 v[6:7], v2, s[8:9]
	s_add_i32 s34, s34, 1
	s_waitcnt vmcnt(0)
	v_mul_f64 v[6:7], v[6:7], v[6:7]
	global_store_dwordx2 v2, v[6:7], s[8:9]
	s_add_u32 s8, s8, 8
	s_addc_u32 s9, s9, 0
	s_cmp_lt_i32 s34, s16
	s_cbranch_scc1 .LBB2_41
.LBB2_42:                               ;   in Loop: Header=BB2_4 Depth=1
	s_lshl_b64 s[2:3], s[2:3], 3
	s_add_u32 s2, s56, s2
	s_addc_u32 s3, s57, s3
	global_load_dwordx2 v[6:7], v2, s[30:31]
	global_load_dwordx2 v[8:9], v2, s[2:3]
	s_mov_b64 s[8:9], -1
                                        ; implicit-def: $sgpr37
	s_waitcnt vmcnt(0)
	v_cmp_lt_f64_e64 s[2:3], |v[6:7]|, |v[8:9]|
	s_and_b64 s[2:3], s[2:3], exec
	s_cselect_b32 s77, s76, s16
	s_cselect_b32 s34, s16, s76
	s_cmp_lt_i32 s75, s58
	s_cselect_b64 s[2:3], -1, 0
	v_cndmask_b32_e64 v3, 0, 1, s[2:3]
	s_cmp_lt_i32 s77, s34
	v_cmp_ne_u32_e64 s[2:3], 1, v3
	s_cbranch_scc0 .LBB2_45
; %bb.43:                               ;   in Loop: Header=BB2_4 Depth=1
	s_andn2_b64 vcc, exec, s[8:9]
	s_cbranch_vccz .LBB2_47
.LBB2_44:                               ;   in Loop: Header=BB2_4 Depth=1
	v_cmp_lt_f64_e32 vcc, s[18:19], v[4:5]
	s_andn2_b64 vcc, exec, vcc
	s_cbranch_vccz .LBB2_145
	s_branch .LBB2_148
.LBB2_45:                               ;   in Loop: Header=BB2_4 Depth=1
	s_and_b64 vcc, exec, s[2:3]
	s_mov_b32 s37, s75
	s_mov_b32 s36, s34
	;; [unrolled: 1-line block ×3, first 2 shown]
	s_cbranch_vccz .LBB2_49
.LBB2_46:                               ;   in Loop: Header=BB2_4 Depth=1
	s_cbranch_execnz .LBB2_44
.LBB2_47:                               ;   in Loop: Header=BB2_4 Depth=1
	s_and_b64 vcc, exec, s[2:3]
	s_cbranch_vccz .LBB2_97
	s_branch .LBB2_144
.LBB2_48:                               ;   in Loop: Header=BB2_49 Depth=2
	s_andn2_b64 vcc, exec, s[38:39]
	s_mov_b32 s36, s43
	s_cbranch_vccz .LBB2_46
.LBB2_49:                               ;   Parent Loop BB2_4 Depth=1
                                        ; =>  This Loop Header: Depth=2
                                        ;       Child Loop BB2_51 Depth 3
                                        ;       Child Loop BB2_63 Depth 3
	s_mov_b32 s37, s17
	s_max_i32 s42, s77, s36
	s_lshl_b64 s[44:45], s[36:37], 3
	s_add_u32 s38, s66, s44
	s_addc_u32 s39, s67, s45
	s_add_u32 s8, s70, s44
	s_addc_u32 s9, s71, s45
	s_mov_b32 s43, s36
	s_branch .LBB2_51
.LBB2_50:                               ;   in Loop: Header=BB2_51 Depth=3
	s_andn2_b64 vcc, exec, s[48:49]
	s_cbranch_vccz .LBB2_53
.LBB2_51:                               ;   Parent Loop BB2_4 Depth=1
                                        ;     Parent Loop BB2_49 Depth=2
                                        ; =>    This Inner Loop Header: Depth=3
	s_mov_b64 s[46:47], -1
	s_mov_b32 s37, s43
	s_cmp_ge_i32 s43, s77
	s_mov_b64 s[48:49], -1
                                        ; implicit-def: $sgpr43
                                        ; implicit-def: $sgpr40_sgpr41
	s_cbranch_scc1 .LBB2_50
; %bb.52:                               ;   in Loop: Header=BB2_51 Depth=3
	global_load_dwordx4 v[6:9], v2, s[8:9] offset:-8
	global_load_dwordx2 v[10:11], v2, s[38:39] offset:8
	s_add_u32 s40, s38, 8
	s_addc_u32 s41, s39, 0
	s_add_i32 s43, s37, 1
	s_add_u32 s8, s8, 8
	s_mov_b64 s[46:47], 0
	s_addc_u32 s9, s9, 0
	s_mov_b64 s[38:39], s[40:41]
	s_waitcnt vmcnt(1)
	v_mul_f64 v[6:7], v[6:7], v[8:9]
	v_mul_f64 v[6:7], v[0:1], |v[6:7]|
	s_waitcnt vmcnt(0)
	v_cmp_le_f64_e64 s[48:49], |v[10:11]|, v[6:7]
	s_branch .LBB2_50
.LBB2_53:                               ;   in Loop: Header=BB2_49 Depth=2
	s_andn2_b64 vcc, exec, s[46:47]
	s_cbranch_vccz .LBB2_55
; %bb.54:                               ;   in Loop: Header=BB2_49 Depth=2
	v_mov_b32_e32 v3, v2
	s_mov_b32 s42, s37
	global_store_dwordx2 v2, v[2:3], s[40:41]
.LBB2_55:                               ;   in Loop: Header=BB2_49 Depth=2
	s_add_i32 s43, s36, 1
	s_cmp_eq_u32 s42, s36
	s_mov_b64 s[38:39], -1
	s_cbranch_scc1 .LBB2_71
; %bb.56:                               ;   in Loop: Header=BB2_49 Depth=2
	s_add_u32 s40, s56, s44
	s_addc_u32 s41, s57, s45
	global_load_dwordx2 v[6:7], v2, s[40:41]
	s_cmp_lg_u32 s42, s43
	s_cbranch_scc0 .LBB2_72
; %bb.57:                               ;   in Loop: Header=BB2_49 Depth=2
	s_mov_b64 s[46:47], 0
	s_cmp_lg_u32 s35, s58
	s_mov_b64 s[8:9], 0
                                        ; implicit-def: $sgpr50
	s_cbranch_scc0 .LBB2_76
; %bb.58:                               ;   in Loop: Header=BB2_49 Depth=2
	s_add_u32 s48, s14, s44
	s_addc_u32 s49, s15, s45
	global_load_dwordx2 v[8:9], v2, s[48:49]
	global_load_dwordx2 v[10:11], v2, s[40:41] offset:8
	s_mov_b32 s43, s17
	s_waitcnt vmcnt(1)
	v_cmp_gt_f64_e32 vcc, s[24:25], v[8:9]
	v_cndmask_b32_e64 v3, 0, 1, vcc
	v_lshlrev_b32_e32 v3, 8, v3
	v_ldexp_f64 v[8:9], v[8:9], v3
	v_rsq_f64_e32 v[12:13], v[8:9]
	s_and_b64 s[8:9], vcc, exec
	s_cselect_b32 s8, 0xffffff80, 0
	v_cmp_class_f64_e32 vcc, v[8:9], v24
	v_mul_f64 v[14:15], v[8:9], v[12:13]
	v_mul_f64 v[12:13], v[12:13], 0.5
	v_fma_f64 v[16:17], -v[12:13], v[14:15], 0.5
	v_fmac_f64_e32 v[14:15], v[14:15], v[16:17]
	v_fmac_f64_e32 v[12:13], v[12:13], v[16:17]
	v_fma_f64 v[16:17], -v[14:15], v[14:15], v[8:9]
	v_fmac_f64_e32 v[14:15], v[16:17], v[12:13]
	v_fma_f64 v[16:17], -v[14:15], v[14:15], v[8:9]
	v_fmac_f64_e32 v[14:15], v[16:17], v[12:13]
	v_ldexp_f64 v[12:13], v[14:15], s8
	v_cndmask_b32_e32 v9, v13, v9, vcc
	v_cndmask_b32_e32 v8, v12, v8, vcc
	s_waitcnt vmcnt(0)
	v_add_f64 v[10:11], v[10:11], -v[6:7]
	v_add_f64 v[12:13], v[8:9], v[8:9]
	v_div_scale_f64 v[14:15], s[8:9], v[12:13], v[12:13], v[10:11]
	v_rcp_f64_e32 v[16:17], v[14:15]
	v_div_scale_f64 v[18:19], vcc, v[10:11], v[12:13], v[10:11]
	v_fma_f64 v[20:21], -v[14:15], v[16:17], 1.0
	v_fmac_f64_e32 v[16:17], v[16:17], v[20:21]
	v_fma_f64 v[20:21], -v[14:15], v[16:17], 1.0
	v_fmac_f64_e32 v[16:17], v[16:17], v[20:21]
	v_mul_f64 v[20:21], v[18:19], v[16:17]
	v_fma_f64 v[14:15], -v[14:15], v[20:21], v[18:19]
	v_div_fmas_f64 v[14:15], v[14:15], v[16:17], v[20:21]
	v_div_fixup_f64 v[10:11], v[14:15], v[12:13], v[10:11]
	v_fma_f64 v[12:13], v[10:11], v[10:11], 1.0
	v_cmp_gt_f64_e32 vcc, s[24:25], v[12:13]
	s_and_b64 s[8:9], vcc, exec
	s_cselect_b32 s37, 0xffffff80, 0
	s_lshl_b64 s[8:9], s[42:43], 3
	s_add_u32 s8, s56, s8
	s_addc_u32 s9, s57, s9
	global_load_dwordx2 v[14:15], v2, s[8:9]
	v_cndmask_b32_e64 v3, 0, 1, vcc
	v_lshlrev_b32_e32 v3, 8, v3
	v_ldexp_f64 v[12:13], v[12:13], v3
	v_rsq_f64_e32 v[16:17], v[12:13]
	v_cmp_class_f64_e32 vcc, v[12:13], v24
	s_cmp_le_i32 s42, s36
	v_mul_f64 v[18:19], v[12:13], v[16:17]
	v_mul_f64 v[16:17], v[16:17], 0.5
	v_fma_f64 v[20:21], -v[16:17], v[18:19], 0.5
	v_fmac_f64_e32 v[18:19], v[18:19], v[20:21]
	v_fmac_f64_e32 v[16:17], v[16:17], v[20:21]
	v_fma_f64 v[20:21], -v[18:19], v[18:19], v[12:13]
	v_fmac_f64_e32 v[18:19], v[20:21], v[16:17]
	v_fma_f64 v[20:21], -v[18:19], v[18:19], v[12:13]
	v_fmac_f64_e32 v[18:19], v[20:21], v[16:17]
	v_ldexp_f64 v[16:17], v[18:19], s37
	v_cndmask_b32_e32 v3, v17, v13, vcc
	v_cndmask_b32_e32 v12, v16, v12, vcc
	v_and_b32_e32 v13, 0x7fffffff, v3
	v_or_b32_e32 v3, 0x80000000, v3
	v_cmp_nle_f64_e32 vcc, 0, v[10:11]
	v_cndmask_b32_e32 v13, v13, v3, vcc
	v_add_f64 v[10:11], v[10:11], v[12:13]
	v_div_scale_f64 v[12:13], s[8:9], v[10:11], v[10:11], v[8:9]
	v_rcp_f64_e32 v[16:17], v[12:13]
	v_div_scale_f64 v[18:19], vcc, v[8:9], v[10:11], v[8:9]
	v_fma_f64 v[20:21], -v[12:13], v[16:17], 1.0
	v_fmac_f64_e32 v[16:17], v[16:17], v[20:21]
	v_fma_f64 v[20:21], -v[12:13], v[16:17], 1.0
	v_fmac_f64_e32 v[16:17], v[16:17], v[20:21]
	v_mul_f64 v[20:21], v[18:19], v[16:17]
	v_fma_f64 v[12:13], -v[12:13], v[20:21], v[18:19]
	v_div_fmas_f64 v[12:13], v[12:13], v[16:17], v[20:21]
	v_div_fixup_f64 v[8:9], v[12:13], v[10:11], v[8:9]
	v_add_f64 v[8:9], v[6:7], -v[8:9]
	v_pk_mov_b32 v[12:13], 0, 0
	s_waitcnt vmcnt(0)
	v_add_f64 v[14:15], v[14:15], -v[8:9]
	v_mul_f64 v[16:17], v[14:15], v[14:15]
	s_cbranch_scc1 .LBB2_75
; %bb.59:                               ;   in Loop: Header=BB2_49 Depth=2
	s_ashr_i32 s43, s42, 31
	s_lshl_b64 s[8:9], s[42:43], 3
	s_add_u32 s50, s60, s8
	s_addc_u32 s51, s61, s9
	global_load_dwordx2 v[10:11], v2, s[50:51]
	s_add_u32 s50, s62, s8
	s_addc_u32 s51, s63, s9
	global_load_dwordx2 v[20:21], v2, s[50:51]
	s_add_u32 s50, s56, s8
	s_addc_u32 s51, s57, s9
	s_waitcnt vmcnt(1)
	v_add_f64 v[12:13], v[16:17], v[10:11]
	v_div_scale_f64 v[18:19], s[8:9], v[12:13], v[12:13], v[16:17]
	v_div_scale_f64 v[26:27], s[8:9], v[12:13], v[12:13], v[10:11]
	v_rcp_f64_e32 v[28:29], v[18:19]
	v_rcp_f64_e32 v[30:31], v[26:27]
	v_div_scale_f64 v[22:23], vcc, v[16:17], v[12:13], v[16:17]
	v_fma_f64 v[36:37], -v[18:19], v[28:29], 1.0
	v_fma_f64 v[38:39], -v[26:27], v[30:31], 1.0
	v_fmac_f64_e32 v[28:29], v[28:29], v[36:37]
	v_fmac_f64_e32 v[30:31], v[30:31], v[38:39]
	v_fma_f64 v[36:37], -v[18:19], v[28:29], 1.0
	v_fma_f64 v[38:39], -v[26:27], v[30:31], 1.0
	v_fmac_f64_e32 v[28:29], v[28:29], v[36:37]
	v_div_scale_f64 v[32:33], s[8:9], v[10:11], v[12:13], v[10:11]
	v_fmac_f64_e32 v[30:31], v[30:31], v[38:39]
	v_mul_f64 v[36:37], v[22:23], v[28:29]
	v_mul_f64 v[38:39], v[32:33], v[30:31]
	v_fma_f64 v[18:19], -v[18:19], v[36:37], v[22:23]
	v_fma_f64 v[22:23], -v[26:27], v[38:39], v[32:33]
	v_div_fmas_f64 v[18:19], v[18:19], v[28:29], v[36:37]
	s_mov_b64 vcc, s[8:9]
	v_div_fixup_f64 v[16:17], v[18:19], v[12:13], v[16:17]
	v_div_fmas_f64 v[18:19], v[22:23], v[30:31], v[38:39]
	v_div_fixup_f64 v[12:13], v[18:19], v[12:13], v[10:11]
	s_waitcnt vmcnt(0)
	v_add_f64 v[34:35], v[20:21], -v[8:9]
	v_mul_f64 v[18:19], v[14:15], v[12:13]
	v_fma_f64 v[18:19], v[16:17], v[34:35], -v[18:19]
	v_cmp_eq_f64_e32 vcc, 0, v[16:17]
	v_add_f64 v[20:21], v[20:21], -v[18:19]
	v_add_f64 v[14:15], v[14:15], v[20:21]
	global_store_dwordx2 v2, v[14:15], s[50:51]
	s_cbranch_vccnz .LBB2_61
; %bb.60:                               ;   in Loop: Header=BB2_49 Depth=2
	v_mul_f64 v[10:11], v[18:19], v[18:19]
	v_div_scale_f64 v[14:15], s[8:9], v[16:17], v[16:17], v[10:11]
	v_rcp_f64_e32 v[20:21], v[14:15]
	v_div_scale_f64 v[22:23], vcc, v[10:11], v[16:17], v[10:11]
	v_fma_f64 v[26:27], -v[14:15], v[20:21], 1.0
	v_fmac_f64_e32 v[20:21], v[20:21], v[26:27]
	v_fma_f64 v[26:27], -v[14:15], v[20:21], 1.0
	v_fmac_f64_e32 v[20:21], v[20:21], v[26:27]
	v_mul_f64 v[26:27], v[22:23], v[20:21]
	v_fma_f64 v[14:15], -v[14:15], v[26:27], v[22:23]
	v_div_fmas_f64 v[14:15], v[14:15], v[20:21], v[26:27]
	v_div_fixup_f64 v[10:11], v[14:15], v[16:17], v[10:11]
.LBB2_61:                               ;   in Loop: Header=BB2_49 Depth=2
	s_add_i32 s8, s42, -1
	s_cmp_le_i32 s8, s36
	s_cbranch_scc1 .LBB2_73
; %bb.62:                               ;   in Loop: Header=BB2_49 Depth=2
	s_add_i32 s8, s42, -2
	s_ashr_i32 s9, s8, 31
	s_lshl_b64 s[8:9], s[8:9], 3
	s_add_u32 s52, s70, s8
	s_addc_u32 s53, s71, s9
	s_add_u32 s8, s72, s8
	s_addc_u32 s9, s73, s9
	s_mov_b32 s37, -1
.LBB2_63:                               ;   Parent Loop BB2_4 Depth=1
                                        ;     Parent Loop BB2_49 Depth=2
                                        ; =>    This Inner Loop Header: Depth=3
	global_load_dwordx2 v[20:21], v2, s[8:9] offset:-8
	s_add_u32 s50, s8, -8
	s_addc_u32 s51, s9, -1
	s_cmp_eq_u32 s37, 0
	s_waitcnt vmcnt(0)
	v_add_f64 v[14:15], v[10:11], v[20:21]
	s_cbranch_scc1 .LBB2_65
; %bb.64:                               ;   in Loop: Header=BB2_63 Depth=3
	v_mul_f64 v[12:13], v[12:13], v[14:15]
	global_store_dwordx2 v2, v[12:13], s[8:9]
.LBB2_65:                               ;   in Loop: Header=BB2_63 Depth=3
	global_load_dwordx2 v[26:27], v2, s[52:53] offset:-8
	v_div_scale_f64 v[12:13], s[8:9], v[14:15], v[14:15], v[10:11]
	v_div_scale_f64 v[28:29], s[8:9], v[14:15], v[14:15], v[20:21]
	v_rcp_f64_e32 v[32:33], v[12:13]
	v_rcp_f64_e32 v[34:35], v[28:29]
	v_div_scale_f64 v[22:23], vcc, v[10:11], v[14:15], v[10:11]
	v_fma_f64 v[36:37], -v[12:13], v[32:33], 1.0
	v_fma_f64 v[38:39], -v[28:29], v[34:35], 1.0
	v_fmac_f64_e32 v[32:33], v[32:33], v[36:37]
	v_fmac_f64_e32 v[34:35], v[34:35], v[38:39]
	v_fma_f64 v[36:37], -v[12:13], v[32:33], 1.0
	v_fma_f64 v[38:39], -v[28:29], v[34:35], 1.0
	v_fmac_f64_e32 v[32:33], v[32:33], v[36:37]
	v_div_scale_f64 v[30:31], s[8:9], v[20:21], v[14:15], v[20:21]
	v_fmac_f64_e32 v[34:35], v[34:35], v[38:39]
	v_mul_f64 v[36:37], v[22:23], v[32:33]
	v_mul_f64 v[38:39], v[30:31], v[34:35]
	v_fma_f64 v[12:13], -v[12:13], v[36:37], v[22:23]
	v_fma_f64 v[28:29], -v[28:29], v[38:39], v[30:31]
	v_div_fmas_f64 v[12:13], v[12:13], v[32:33], v[36:37]
	s_mov_b64 vcc, s[8:9]
	v_div_fixup_f64 v[22:23], v[12:13], v[14:15], v[10:11]
	v_div_fmas_f64 v[10:11], v[28:29], v[34:35], v[38:39]
	v_div_fixup_f64 v[12:13], v[10:11], v[14:15], v[20:21]
	v_mul_f64 v[10:11], v[18:19], v[12:13]
	s_add_u32 s54, s52, -8
	v_cmp_eq_f64_e32 vcc, 0, v[22:23]
	s_addc_u32 s55, s53, -1
	s_and_b64 vcc, exec, vcc
	s_waitcnt vmcnt(0)
	v_add_f64 v[14:15], v[26:27], -v[8:9]
	v_fma_f64 v[14:15], v[22:23], v[14:15], -v[10:11]
	v_add_f64 v[10:11], v[26:27], -v[14:15]
	v_add_f64 v[10:11], v[18:19], v[10:11]
	global_store_dwordx2 v2, v[10:11], s[52:53]
	s_cbranch_vccz .LBB2_70
; %bb.66:                               ;   in Loop: Header=BB2_63 Depth=3
	v_mul_f64 v[10:11], v[16:17], v[20:21]
	s_cbranch_execnz .LBB2_68
.LBB2_67:                               ;   in Loop: Header=BB2_63 Depth=3
	v_mul_f64 v[10:11], v[14:15], v[14:15]
	v_div_scale_f64 v[16:17], s[8:9], v[22:23], v[22:23], v[10:11]
	v_rcp_f64_e32 v[18:19], v[16:17]
	v_div_scale_f64 v[20:21], vcc, v[10:11], v[22:23], v[10:11]
	v_fma_f64 v[26:27], -v[16:17], v[18:19], 1.0
	v_fmac_f64_e32 v[18:19], v[18:19], v[26:27]
	v_fma_f64 v[26:27], -v[16:17], v[18:19], 1.0
	v_fmac_f64_e32 v[18:19], v[18:19], v[26:27]
	v_mul_f64 v[26:27], v[20:21], v[18:19]
	v_fma_f64 v[16:17], -v[16:17], v[26:27], v[20:21]
	v_div_fmas_f64 v[16:17], v[16:17], v[18:19], v[26:27]
	v_div_fixup_f64 v[10:11], v[16:17], v[22:23], v[10:11]
.LBB2_68:                               ;   in Loop: Header=BB2_63 Depth=3
	s_add_i32 s37, s37, -1
	s_add_i32 s8, s42, s37
	s_cmp_le_i32 s8, s36
	s_cbranch_scc1 .LBB2_74
; %bb.69:                               ;   in Loop: Header=BB2_63 Depth=3
	s_mov_b64 s[8:9], s[50:51]
	s_mov_b64 s[52:53], s[54:55]
	v_pk_mov_b32 v[16:17], v[22:23], v[22:23] op_sel:[0,1]
	v_pk_mov_b32 v[18:19], v[14:15], v[14:15] op_sel:[0,1]
	s_branch .LBB2_63
.LBB2_70:                               ;   in Loop: Header=BB2_63 Depth=3
                                        ; implicit-def: $vgpr10_vgpr11
	s_branch .LBB2_67
.LBB2_71:                               ;   in Loop: Header=BB2_49 Depth=2
                                        ; implicit-def: $sgpr37
	s_cbranch_execz .LBB2_48
	s_branch .LBB2_95
.LBB2_72:                               ;   in Loop: Header=BB2_49 Depth=2
	s_mov_b64 s[8:9], 0
                                        ; implicit-def: $sgpr37
                                        ; implicit-def: $sgpr43
                                        ; implicit-def: $sgpr50
	s_cbranch_execnz .LBB2_77
	s_branch .LBB2_94
.LBB2_73:                               ;   in Loop: Header=BB2_49 Depth=2
	v_pk_mov_b32 v[14:15], v[18:19], v[18:19] op_sel:[0,1]
.LBB2_74:                               ;   in Loop: Header=BB2_49 Depth=2
	v_pk_mov_b32 v[16:17], v[10:11], v[10:11] op_sel:[0,1]
.LBB2_75:                               ;   in Loop: Header=BB2_49 Depth=2
	v_mul_f64 v[10:11], v[12:13], v[16:17]
	v_add_f64 v[8:9], v[8:9], v[14:15]
	s_add_i32 s50, s35, 1
	global_store_dwordx2 v2, v[10:11], s[48:49]
	global_store_dwordx2 v2, v[8:9], s[40:41]
	s_mov_b64 s[8:9], -1
.LBB2_76:                               ;   in Loop: Header=BB2_49 Depth=2
	s_mov_b32 s37, s58
	s_mov_b32 s43, s36
	s_and_b64 vcc, exec, s[46:47]
	s_cbranch_vccz .LBB2_94
.LBB2_77:                               ;   in Loop: Header=BB2_49 Depth=2
	s_add_u32 s8, s14, s44
	s_addc_u32 s9, s15, s45
	global_load_dwordx2 v[8:9], v2, s[8:9]
	s_mov_b32 s43, s17
	s_waitcnt vmcnt(0)
	v_cmp_gt_f64_e32 vcc, s[24:25], v[8:9]
	s_and_b64 s[44:45], vcc, exec
	s_cselect_b32 s37, 0xffffff80, 0
	s_lshl_b64 s[42:43], s[42:43], 3
	s_add_u32 s42, s56, s42
	s_addc_u32 s43, s57, s43
	global_load_dwordx2 v[10:11], v2, s[42:43]
	v_cndmask_b32_e64 v3, 0, 1, vcc
	v_lshlrev_b32_e32 v3, 8, v3
	v_ldexp_f64 v[8:9], v[8:9], v3
	v_rsq_f64_e32 v[12:13], v[8:9]
	v_cmp_class_f64_e32 vcc, v[8:9], v24
	v_mul_f64 v[14:15], v[8:9], v[12:13]
	v_mul_f64 v[12:13], v[12:13], 0.5
	v_fma_f64 v[16:17], -v[12:13], v[14:15], 0.5
	v_fmac_f64_e32 v[14:15], v[14:15], v[16:17]
	v_fmac_f64_e32 v[12:13], v[12:13], v[16:17]
	v_fma_f64 v[16:17], -v[14:15], v[14:15], v[8:9]
	v_fmac_f64_e32 v[14:15], v[16:17], v[12:13]
	v_fma_f64 v[16:17], -v[14:15], v[14:15], v[8:9]
	v_fmac_f64_e32 v[14:15], v[16:17], v[12:13]
	v_ldexp_f64 v[12:13], v[14:15], s37
	v_cndmask_b32_e32 v9, v13, v9, vcc
	v_cndmask_b32_e32 v8, v12, v8, vcc
	v_add_f64 v[16:17], v[8:9], v[8:9]
	s_waitcnt vmcnt(0)
	v_add_f64 v[14:15], v[6:7], -v[10:11]
	v_cmp_ngt_f64_e64 s[44:45], |v[14:15]|, |v[16:17]|
	s_and_b64 vcc, exec, s[44:45]
	s_cbranch_vccz .LBB2_80
; %bb.78:                               ;   in Loop: Header=BB2_49 Depth=2
	v_cmp_nlt_f64_e64 s[44:45], |v[14:15]|, |v[16:17]|
	s_and_b64 vcc, exec, s[44:45]
	s_cbranch_vccz .LBB2_81
; %bb.79:                               ;   in Loop: Header=BB2_49 Depth=2
	v_mul_f64 v[12:13], |v[16:17]|, s[26:27]
	s_cbranch_execz .LBB2_82
	s_branch .LBB2_83
.LBB2_80:                               ;   in Loop: Header=BB2_49 Depth=2
                                        ; implicit-def: $vgpr12_vgpr13
	s_branch .LBB2_84
.LBB2_81:                               ;   in Loop: Header=BB2_49 Depth=2
                                        ; implicit-def: $vgpr12_vgpr13
.LBB2_82:                               ;   in Loop: Header=BB2_49 Depth=2
	v_and_b32_e32 v13, 0x7fffffff, v15
	v_mov_b32_e32 v12, v14
	v_and_b32_e32 v19, 0x7fffffff, v17
	v_mov_b32_e32 v18, v16
	v_div_scale_f64 v[20:21], s[44:45], v[18:19], v[18:19], v[12:13]
	v_rcp_f64_e32 v[22:23], v[20:21]
	v_div_scale_f64 v[12:13], vcc, v[12:13], v[18:19], v[12:13]
	v_fma_f64 v[26:27], -v[20:21], v[22:23], 1.0
	v_fmac_f64_e32 v[22:23], v[22:23], v[26:27]
	v_fma_f64 v[26:27], -v[20:21], v[22:23], 1.0
	v_fmac_f64_e32 v[22:23], v[22:23], v[26:27]
	v_mul_f64 v[18:19], v[12:13], v[22:23]
	v_fma_f64 v[12:13], -v[20:21], v[18:19], v[12:13]
	v_div_fmas_f64 v[12:13], v[12:13], v[22:23], v[18:19]
	v_div_fixup_f64 v[12:13], v[12:13], |v[16:17]|, |v[14:15]|
	v_fma_f64 v[12:13], v[12:13], v[12:13], 1.0
	v_cmp_gt_f64_e32 vcc, s[24:25], v[12:13]
	v_cndmask_b32_e64 v3, 0, 1, vcc
	v_lshlrev_b32_e32 v3, 8, v3
	v_ldexp_f64 v[12:13], v[12:13], v3
	v_rsq_f64_e32 v[18:19], v[12:13]
	s_and_b64 s[44:45], vcc, exec
	s_cselect_b32 s37, 0xffffff80, 0
	v_cmp_class_f64_e32 vcc, v[12:13], v24
	v_mul_f64 v[20:21], v[12:13], v[18:19]
	v_mul_f64 v[18:19], v[18:19], 0.5
	v_fma_f64 v[22:23], -v[18:19], v[20:21], 0.5
	v_fmac_f64_e32 v[20:21], v[20:21], v[22:23]
	v_fma_f64 v[26:27], -v[20:21], v[20:21], v[12:13]
	v_fmac_f64_e32 v[18:19], v[18:19], v[22:23]
	v_fmac_f64_e32 v[20:21], v[26:27], v[18:19]
	v_fma_f64 v[22:23], -v[20:21], v[20:21], v[12:13]
	v_fmac_f64_e32 v[20:21], v[22:23], v[18:19]
	v_ldexp_f64 v[18:19], v[20:21], s37
	v_cndmask_b32_e32 v13, v19, v13, vcc
	v_cndmask_b32_e32 v12, v18, v12, vcc
	v_mul_f64 v[12:13], |v[16:17]|, v[12:13]
.LBB2_83:                               ;   in Loop: Header=BB2_49 Depth=2
	s_cbranch_execnz .LBB2_85
.LBB2_84:                               ;   in Loop: Header=BB2_49 Depth=2
	v_and_b32_e32 v13, 0x7fffffff, v17
	v_mov_b32_e32 v12, v16
	v_and_b32_e32 v19, 0x7fffffff, v15
	v_mov_b32_e32 v18, v14
	v_div_scale_f64 v[20:21], s[44:45], v[18:19], v[18:19], v[12:13]
	v_rcp_f64_e32 v[22:23], v[20:21]
	v_div_scale_f64 v[12:13], vcc, v[12:13], v[18:19], v[12:13]
	v_fma_f64 v[26:27], -v[20:21], v[22:23], 1.0
	v_fmac_f64_e32 v[22:23], v[22:23], v[26:27]
	v_fma_f64 v[26:27], -v[20:21], v[22:23], 1.0
	v_fmac_f64_e32 v[22:23], v[22:23], v[26:27]
	v_mul_f64 v[18:19], v[12:13], v[22:23]
	v_fma_f64 v[12:13], -v[20:21], v[18:19], v[12:13]
	v_div_fmas_f64 v[12:13], v[12:13], v[22:23], v[18:19]
	v_div_fixup_f64 v[12:13], v[12:13], |v[14:15]|, |v[16:17]|
	v_fma_f64 v[12:13], v[12:13], v[12:13], 1.0
	v_cmp_gt_f64_e32 vcc, s[24:25], v[12:13]
	v_cndmask_b32_e64 v3, 0, 1, vcc
	v_lshlrev_b32_e32 v3, 8, v3
	v_ldexp_f64 v[12:13], v[12:13], v3
	v_rsq_f64_e32 v[16:17], v[12:13]
	s_and_b64 s[44:45], vcc, exec
	s_cselect_b32 s37, 0xffffff80, 0
	v_cmp_class_f64_e32 vcc, v[12:13], v24
	v_mul_f64 v[18:19], v[12:13], v[16:17]
	v_mul_f64 v[16:17], v[16:17], 0.5
	v_fma_f64 v[20:21], -v[16:17], v[18:19], 0.5
	v_fmac_f64_e32 v[18:19], v[18:19], v[20:21]
	v_fma_f64 v[22:23], -v[18:19], v[18:19], v[12:13]
	v_fmac_f64_e32 v[16:17], v[16:17], v[20:21]
	v_fmac_f64_e32 v[18:19], v[22:23], v[16:17]
	v_fma_f64 v[20:21], -v[18:19], v[18:19], v[12:13]
	v_fmac_f64_e32 v[18:19], v[20:21], v[16:17]
	v_ldexp_f64 v[16:17], v[18:19], s37
	v_cndmask_b32_e32 v13, v17, v13, vcc
	v_cndmask_b32_e32 v12, v16, v12, vcc
	v_mul_f64 v[12:13], |v[14:15]|, v[12:13]
.LBB2_85:                               ;   in Loop: Header=BB2_49 Depth=2
	v_add_f64 v[16:17], v[6:7], v[10:11]
	v_cmp_gt_f64_e64 vcc, |v[6:7]|, |v[10:11]|
	v_cndmask_b32_e32 v15, v7, v11, vcc
	v_cndmask_b32_e32 v14, v6, v10, vcc
	;; [unrolled: 1-line block ×4, first 2 shown]
	v_cmp_ngt_f64_e32 vcc, 0, v[16:17]
	s_cbranch_vccz .LBB2_88
; %bb.86:                               ;   in Loop: Header=BB2_49 Depth=2
	v_cmp_nlt_f64_e32 vcc, 0, v[16:17]
	s_cbranch_vccz .LBB2_89
; %bb.87:                               ;   in Loop: Header=BB2_49 Depth=2
	v_mul_f64 v[10:11], v[12:13], 0.5
	v_mul_f64 v[18:19], v[12:13], -0.5
	s_cbranch_execz .LBB2_90
	s_branch .LBB2_91
.LBB2_88:                               ;   in Loop: Header=BB2_49 Depth=2
                                        ; implicit-def: $vgpr18_vgpr19
                                        ; implicit-def: $vgpr10_vgpr11
	s_branch .LBB2_92
.LBB2_89:                               ;   in Loop: Header=BB2_49 Depth=2
                                        ; implicit-def: $vgpr18_vgpr19
                                        ; implicit-def: $vgpr10_vgpr11
.LBB2_90:                               ;   in Loop: Header=BB2_49 Depth=2
	v_add_f64 v[10:11], v[16:17], v[12:13]
	v_mul_f64 v[10:11], v[10:11], 0.5
	v_div_scale_f64 v[18:19], s[44:45], v[10:11], v[10:11], v[6:7]
	v_rcp_f64_e32 v[20:21], v[18:19]
	v_div_scale_f64 v[22:23], vcc, v[6:7], v[10:11], v[6:7]
	v_fma_f64 v[26:27], -v[18:19], v[20:21], 1.0
	v_fmac_f64_e32 v[20:21], v[20:21], v[26:27]
	v_fma_f64 v[26:27], -v[18:19], v[20:21], 1.0
	v_fmac_f64_e32 v[20:21], v[20:21], v[26:27]
	v_mul_f64 v[26:27], v[22:23], v[20:21]
	v_fma_f64 v[18:19], -v[18:19], v[26:27], v[22:23]
	v_div_scale_f64 v[22:23], s[44:45], v[10:11], v[10:11], v[8:9]
	v_rcp_f64_e32 v[28:29], v[22:23]
	v_div_fmas_f64 v[18:19], v[18:19], v[20:21], v[26:27]
	v_div_fixup_f64 v[18:19], v[18:19], v[10:11], v[6:7]
	v_fma_f64 v[20:21], -v[22:23], v[28:29], 1.0
	v_fmac_f64_e32 v[28:29], v[28:29], v[20:21]
	v_fma_f64 v[20:21], -v[22:23], v[28:29], 1.0
	v_fmac_f64_e32 v[28:29], v[28:29], v[20:21]
	v_div_scale_f64 v[20:21], vcc, v[8:9], v[10:11], v[8:9]
	v_mul_f64 v[26:27], v[20:21], v[28:29]
	v_fma_f64 v[20:21], -v[22:23], v[26:27], v[20:21]
	s_nop 1
	v_div_fmas_f64 v[20:21], v[20:21], v[28:29], v[26:27]
	v_div_fixup_f64 v[20:21], v[20:21], v[10:11], v[8:9]
	v_mul_f64 v[20:21], v[8:9], v[20:21]
	v_fma_f64 v[18:19], v[14:15], v[18:19], -v[20:21]
.LBB2_91:                               ;   in Loop: Header=BB2_49 Depth=2
	s_cbranch_execnz .LBB2_93
.LBB2_92:                               ;   in Loop: Header=BB2_49 Depth=2
	v_add_f64 v[10:11], v[16:17], -v[12:13]
	v_mul_f64 v[10:11], v[10:11], 0.5
	v_div_scale_f64 v[12:13], s[44:45], v[10:11], v[10:11], v[6:7]
	v_rcp_f64_e32 v[16:17], v[12:13]
	v_div_scale_f64 v[18:19], vcc, v[6:7], v[10:11], v[6:7]
	v_fma_f64 v[20:21], -v[12:13], v[16:17], 1.0
	v_fmac_f64_e32 v[16:17], v[16:17], v[20:21]
	v_fma_f64 v[20:21], -v[12:13], v[16:17], 1.0
	v_fmac_f64_e32 v[16:17], v[16:17], v[20:21]
	v_mul_f64 v[20:21], v[18:19], v[16:17]
	v_fma_f64 v[12:13], -v[12:13], v[20:21], v[18:19]
	v_div_scale_f64 v[18:19], s[44:45], v[10:11], v[10:11], v[8:9]
	v_rcp_f64_e32 v[22:23], v[18:19]
	v_div_fmas_f64 v[12:13], v[12:13], v[16:17], v[20:21]
	v_div_fixup_f64 v[6:7], v[12:13], v[10:11], v[6:7]
	v_fma_f64 v[12:13], -v[18:19], v[22:23], 1.0
	v_fmac_f64_e32 v[22:23], v[22:23], v[12:13]
	v_fma_f64 v[12:13], -v[18:19], v[22:23], 1.0
	v_fmac_f64_e32 v[22:23], v[22:23], v[12:13]
	v_div_scale_f64 v[12:13], vcc, v[8:9], v[10:11], v[8:9]
	v_mul_f64 v[16:17], v[12:13], v[22:23]
	v_fma_f64 v[12:13], -v[18:19], v[16:17], v[12:13]
	s_nop 1
	v_div_fmas_f64 v[12:13], v[12:13], v[22:23], v[16:17]
	v_div_fixup_f64 v[12:13], v[12:13], v[10:11], v[8:9]
	v_mul_f64 v[8:9], v[8:9], v[12:13]
	v_fma_f64 v[18:19], v[14:15], v[6:7], -v[8:9]
.LBB2_93:                               ;   in Loop: Header=BB2_49 Depth=2
	v_mov_b32_e32 v3, v2
	global_store_dwordx2 v2, v[10:11], s[40:41]
	global_store_dwordx2 v2, v[18:19], s[42:43]
	;; [unrolled: 1-line block ×3, first 2 shown]
	s_add_i32 s43, s36, 2
	s_mov_b64 s[8:9], -1
	s_mov_b32 s50, s35
                                        ; implicit-def: $sgpr37
.LBB2_94:                               ;   in Loop: Header=BB2_49 Depth=2
	s_mov_b32 s35, s50
	s_and_b64 vcc, exec, s[8:9]
	s_cbranch_vccz .LBB2_48
.LBB2_95:                               ;   in Loop: Header=BB2_49 Depth=2
	s_cmp_gt_i32 s43, s77
	s_cselect_b64 s[8:9], -1, 0
	s_cmp_ge_i32 s35, s58
	s_cselect_b64 s[36:37], -1, 0
	s_or_b64 s[38:39], s[8:9], s[36:37]
	s_mov_b32 s37, s35
	s_branch .LBB2_48
.LBB2_96:                               ;   in Loop: Header=BB2_97 Depth=2
	s_andn2_b64 vcc, exec, s[8:9]
	s_mov_b32 s34, s35
	s_cbranch_vccz .LBB2_143
.LBB2_97:                               ;   Parent Loop BB2_4 Depth=1
                                        ; =>  This Loop Header: Depth=2
                                        ;       Child Loop BB2_99 Depth 3
                                        ;       Child Loop BB2_112 Depth 3
	s_ashr_i32 s35, s34, 31
	s_min_i32 s38, s77, s34
	s_lshl_b64 s[2:3], s[34:35], 3
	s_add_u32 s36, s68, s2
	s_addc_u32 s37, s69, s3
	s_add_u32 s8, s72, s2
	s_addc_u32 s9, s73, s3
	s_mov_b32 s39, s34
	s_branch .LBB2_99
.LBB2_98:                               ;   in Loop: Header=BB2_99 Depth=3
	s_andn2_b64 vcc, exec, s[42:43]
	s_cbranch_vccz .LBB2_101
.LBB2_99:                               ;   Parent Loop BB2_4 Depth=1
                                        ;     Parent Loop BB2_97 Depth=2
                                        ; =>    This Inner Loop Header: Depth=3
	s_mov_b64 s[40:41], -1
	s_mov_b32 s35, s39
	s_cmp_le_i32 s39, s77
	s_mov_b64 s[42:43], -1
                                        ; implicit-def: $sgpr39
	s_cbranch_scc1 .LBB2_98
; %bb.100:                              ;   in Loop: Header=BB2_99 Depth=3
	global_load_dwordx4 v[6:9], v2, s[36:37] offset:-8
	global_load_dwordx2 v[10:11], v2, s[8:9] offset:-16
	s_add_i32 s39, s35, -1
	s_add_u32 s36, s36, -8
	s_addc_u32 s37, s37, -1
	s_add_u32 s8, s8, -8
	s_mov_b64 s[40:41], 0
	s_addc_u32 s9, s9, -1
	s_waitcnt vmcnt(1)
	v_mul_f64 v[6:7], v[8:9], v[6:7]
	v_mul_f64 v[6:7], v[0:1], |v[6:7]|
	s_waitcnt vmcnt(0)
	v_cmp_le_f64_e64 s[42:43], |v[10:11]|, v[6:7]
	s_branch .LBB2_98
.LBB2_101:                              ;   in Loop: Header=BB2_97 Depth=2
	s_andn2_b64 vcc, exec, s[40:41]
	s_cbranch_vccz .LBB2_103
; %bb.102:                              ;   in Loop: Header=BB2_97 Depth=2
	v_mov_b32_e32 v3, v2
	s_mov_b32 s38, s35
	global_store_dwordx2 v2, v[2:3], s[8:9] offset:-8
.LBB2_103:                              ;   in Loop: Header=BB2_97 Depth=2
	s_add_i32 s35, s34, -1
	s_cmp_eq_u32 s38, s34
	s_mov_b64 s[8:9], -1
	s_cbranch_scc1 .LBB2_118
; %bb.104:                              ;   in Loop: Header=BB2_97 Depth=2
	s_add_u32 s36, s56, s2
	s_addc_u32 s37, s57, s3
	global_load_dwordx2 v[6:7], v2, s[36:37]
	s_cmp_lg_u32 s38, s35
	s_cbranch_scc0 .LBB2_119
; %bb.105:                              ;   in Loop: Header=BB2_97 Depth=2
	s_mov_b64 s[40:41], 0
	s_cmp_lg_u32 s75, s58
	s_mov_b64 s[42:43], 0
                                        ; implicit-def: $sgpr39
	s_cbranch_scc0 .LBB2_123
; %bb.106:                              ;   in Loop: Header=BB2_97 Depth=2
	s_add_u32 s42, s60, s2
	s_addc_u32 s43, s61, s3
	global_load_dwordx2 v[8:9], v2, s[42:43]
	global_load_dwordx2 v[10:11], v2, s[36:37] offset:-8
	s_waitcnt vmcnt(1)
	v_cmp_gt_f64_e32 vcc, s[24:25], v[8:9]
	v_cndmask_b32_e64 v3, 0, 1, vcc
	v_lshlrev_b32_e32 v3, 8, v3
	v_ldexp_f64 v[8:9], v[8:9], v3
	v_rsq_f64_e32 v[12:13], v[8:9]
	s_and_b64 s[2:3], vcc, exec
	s_cselect_b32 s2, 0xffffff80, 0
	v_cmp_class_f64_e32 vcc, v[8:9], v24
	v_mul_f64 v[14:15], v[8:9], v[12:13]
	v_mul_f64 v[12:13], v[12:13], 0.5
	v_fma_f64 v[16:17], -v[12:13], v[14:15], 0.5
	v_fmac_f64_e32 v[14:15], v[14:15], v[16:17]
	v_fmac_f64_e32 v[12:13], v[12:13], v[16:17]
	v_fma_f64 v[16:17], -v[14:15], v[14:15], v[8:9]
	v_fmac_f64_e32 v[14:15], v[16:17], v[12:13]
	v_fma_f64 v[16:17], -v[14:15], v[14:15], v[8:9]
	v_fmac_f64_e32 v[14:15], v[16:17], v[12:13]
	v_ldexp_f64 v[12:13], v[14:15], s2
	v_cndmask_b32_e32 v9, v13, v9, vcc
	v_cndmask_b32_e32 v8, v12, v8, vcc
	s_waitcnt vmcnt(0)
	v_add_f64 v[10:11], v[10:11], -v[6:7]
	v_add_f64 v[12:13], v[8:9], v[8:9]
	v_div_scale_f64 v[14:15], s[2:3], v[12:13], v[12:13], v[10:11]
	v_rcp_f64_e32 v[16:17], v[14:15]
	v_div_scale_f64 v[18:19], vcc, v[10:11], v[12:13], v[10:11]
	v_fma_f64 v[20:21], -v[14:15], v[16:17], 1.0
	v_fmac_f64_e32 v[16:17], v[16:17], v[20:21]
	v_fma_f64 v[20:21], -v[14:15], v[16:17], 1.0
	v_fmac_f64_e32 v[16:17], v[16:17], v[20:21]
	v_mul_f64 v[20:21], v[18:19], v[16:17]
	v_fma_f64 v[14:15], -v[14:15], v[20:21], v[18:19]
	v_div_fmas_f64 v[14:15], v[14:15], v[16:17], v[20:21]
	v_div_fixup_f64 v[10:11], v[14:15], v[12:13], v[10:11]
	v_fma_f64 v[12:13], v[10:11], v[10:11], 1.0
	v_cmp_gt_f64_e32 vcc, s[24:25], v[12:13]
	s_and_b64 s[2:3], vcc, exec
	s_cselect_b32 s35, 0xffffff80, 0
	s_ashr_i32 s39, s38, 31
	s_lshl_b64 s[2:3], s[38:39], 3
	s_add_u32 s44, s56, s2
	s_addc_u32 s45, s57, s3
	global_load_dwordx2 v[14:15], v2, s[44:45]
	v_cndmask_b32_e64 v3, 0, 1, vcc
	v_lshlrev_b32_e32 v3, 8, v3
	v_ldexp_f64 v[12:13], v[12:13], v3
	v_rsq_f64_e32 v[16:17], v[12:13]
	v_cmp_class_f64_e32 vcc, v[12:13], v24
	s_cmp_ge_i32 s38, s34
	v_mul_f64 v[18:19], v[12:13], v[16:17]
	v_mul_f64 v[16:17], v[16:17], 0.5
	v_fma_f64 v[20:21], -v[16:17], v[18:19], 0.5
	v_fmac_f64_e32 v[18:19], v[18:19], v[20:21]
	v_fmac_f64_e32 v[16:17], v[16:17], v[20:21]
	v_fma_f64 v[20:21], -v[18:19], v[18:19], v[12:13]
	v_fmac_f64_e32 v[18:19], v[20:21], v[16:17]
	v_fma_f64 v[20:21], -v[18:19], v[18:19], v[12:13]
	v_fmac_f64_e32 v[18:19], v[20:21], v[16:17]
	v_ldexp_f64 v[16:17], v[18:19], s35
	v_cndmask_b32_e32 v3, v17, v13, vcc
	v_cndmask_b32_e32 v12, v16, v12, vcc
	v_and_b32_e32 v13, 0x7fffffff, v3
	v_or_b32_e32 v3, 0x80000000, v3
	v_cmp_nle_f64_e32 vcc, 0, v[10:11]
	v_cndmask_b32_e32 v13, v13, v3, vcc
	v_add_f64 v[10:11], v[10:11], v[12:13]
	v_div_scale_f64 v[12:13], s[46:47], v[10:11], v[10:11], v[8:9]
	v_rcp_f64_e32 v[16:17], v[12:13]
	v_div_scale_f64 v[18:19], vcc, v[8:9], v[10:11], v[8:9]
	v_fma_f64 v[20:21], -v[12:13], v[16:17], 1.0
	v_fmac_f64_e32 v[16:17], v[16:17], v[20:21]
	v_fma_f64 v[20:21], -v[12:13], v[16:17], 1.0
	v_fmac_f64_e32 v[16:17], v[16:17], v[20:21]
	v_mul_f64 v[20:21], v[18:19], v[16:17]
	v_fma_f64 v[12:13], -v[12:13], v[20:21], v[18:19]
	v_div_fmas_f64 v[12:13], v[12:13], v[16:17], v[20:21]
	v_div_fixup_f64 v[8:9], v[12:13], v[10:11], v[8:9]
	v_add_f64 v[8:9], v[6:7], -v[8:9]
	v_pk_mov_b32 v[12:13], 0, 0
	s_waitcnt vmcnt(0)
	v_add_f64 v[14:15], v[14:15], -v[8:9]
	v_mul_f64 v[16:17], v[14:15], v[14:15]
	s_cbranch_scc1 .LBB2_122
; %bb.107:                              ;   in Loop: Header=BB2_97 Depth=2
	s_add_u32 s2, s14, s2
	s_addc_u32 s3, s15, s3
	global_load_dwordx2 v[10:11], v2, s[2:3]
	global_load_dwordx2 v[20:21], v2, s[44:45] offset:8
	s_waitcnt vmcnt(1)
	v_add_f64 v[12:13], v[16:17], v[10:11]
	v_div_scale_f64 v[22:23], s[2:3], v[12:13], v[12:13], v[16:17]
	v_div_scale_f64 v[28:29], s[2:3], v[12:13], v[12:13], v[10:11]
	v_rcp_f64_e32 v[30:31], v[22:23]
	v_rcp_f64_e32 v[32:33], v[28:29]
	v_div_scale_f64 v[26:27], vcc, v[16:17], v[12:13], v[16:17]
	v_fma_f64 v[36:37], -v[22:23], v[30:31], 1.0
	v_fma_f64 v[38:39], -v[28:29], v[32:33], 1.0
	v_fmac_f64_e32 v[30:31], v[30:31], v[36:37]
	v_fmac_f64_e32 v[32:33], v[32:33], v[38:39]
	v_fma_f64 v[36:37], -v[22:23], v[30:31], 1.0
	v_fma_f64 v[38:39], -v[28:29], v[32:33], 1.0
	v_fmac_f64_e32 v[30:31], v[30:31], v[36:37]
	v_div_scale_f64 v[34:35], s[2:3], v[10:11], v[12:13], v[10:11]
	v_fmac_f64_e32 v[32:33], v[32:33], v[38:39]
	v_mul_f64 v[36:37], v[26:27], v[30:31]
	v_mul_f64 v[38:39], v[34:35], v[32:33]
	v_fma_f64 v[22:23], -v[22:23], v[36:37], v[26:27]
	v_fma_f64 v[26:27], -v[28:29], v[38:39], v[34:35]
	v_div_fmas_f64 v[22:23], v[22:23], v[30:31], v[36:37]
	s_mov_b64 vcc, s[2:3]
	v_div_fixup_f64 v[16:17], v[22:23], v[12:13], v[16:17]
	v_div_fmas_f64 v[22:23], v[26:27], v[32:33], v[38:39]
	v_div_fixup_f64 v[12:13], v[22:23], v[12:13], v[10:11]
	s_waitcnt vmcnt(0)
	v_add_f64 v[18:19], v[20:21], -v[8:9]
	v_mul_f64 v[22:23], v[14:15], v[12:13]
	v_fma_f64 v[18:19], v[16:17], v[18:19], -v[22:23]
	v_cmp_eq_f64_e32 vcc, 0, v[16:17]
	v_add_f64 v[20:21], v[20:21], -v[18:19]
	v_add_f64 v[14:15], v[14:15], v[20:21]
	global_store_dwordx2 v2, v[14:15], s[44:45]
	s_cbranch_vccnz .LBB2_109
; %bb.108:                              ;   in Loop: Header=BB2_97 Depth=2
	v_mul_f64 v[10:11], v[18:19], v[18:19]
	v_div_scale_f64 v[14:15], s[2:3], v[16:17], v[16:17], v[10:11]
	v_rcp_f64_e32 v[20:21], v[14:15]
	v_div_scale_f64 v[22:23], vcc, v[10:11], v[16:17], v[10:11]
	v_fma_f64 v[26:27], -v[14:15], v[20:21], 1.0
	v_fmac_f64_e32 v[20:21], v[20:21], v[26:27]
	v_fma_f64 v[26:27], -v[14:15], v[20:21], 1.0
	v_fmac_f64_e32 v[20:21], v[20:21], v[26:27]
	v_mul_f64 v[26:27], v[22:23], v[20:21]
	v_fma_f64 v[14:15], -v[14:15], v[26:27], v[22:23]
	v_div_fmas_f64 v[14:15], v[14:15], v[20:21], v[26:27]
	v_div_fixup_f64 v[10:11], v[14:15], v[16:17], v[10:11]
.LBB2_109:                              ;   in Loop: Header=BB2_97 Depth=2
	s_add_i32 s2, s38, 1
	s_cmp_ge_i32 s2, s34
	s_cbranch_scc1 .LBB2_120
; %bb.110:                              ;   in Loop: Header=BB2_97 Depth=2
	s_ashr_i32 s3, s2, 31
	s_lshl_b64 s[2:3], s[2:3], 3
	s_add_u32 s44, s64, s2
	s_addc_u32 s45, s65, s3
	s_add_u32 s46, s70, s2
	s_addc_u32 s47, s71, s3
	s_mov_b32 s35, 1
	global_load_dwordx2 v[20:21], v2, s[44:45]
	s_cmp_eq_u32 s35, 0
	s_waitcnt vmcnt(0)
	v_add_f64 v[14:15], v[10:11], v[20:21]
	s_cbranch_scc1 .LBB2_112
.LBB2_111:                              ;   in Loop: Header=BB2_97 Depth=2
	v_mul_f64 v[12:13], v[12:13], v[14:15]
	global_store_dwordx2 v2, v[12:13], s[44:45] offset:-8
.LBB2_112:                              ;   Parent Loop BB2_4 Depth=1
                                        ;     Parent Loop BB2_97 Depth=2
                                        ; =>    This Inner Loop Header: Depth=3
	global_load_dwordx2 v[26:27], v2, s[46:47]
	v_div_scale_f64 v[12:13], s[2:3], v[14:15], v[14:15], v[10:11]
	v_div_scale_f64 v[28:29], s[2:3], v[14:15], v[14:15], v[20:21]
	v_rcp_f64_e32 v[30:31], v[12:13]
	v_rcp_f64_e32 v[32:33], v[28:29]
	v_div_scale_f64 v[22:23], vcc, v[10:11], v[14:15], v[10:11]
	v_fma_f64 v[36:37], -v[12:13], v[30:31], 1.0
	v_fma_f64 v[38:39], -v[28:29], v[32:33], 1.0
	v_fmac_f64_e32 v[30:31], v[30:31], v[36:37]
	v_fmac_f64_e32 v[32:33], v[32:33], v[38:39]
	v_fma_f64 v[36:37], -v[12:13], v[30:31], 1.0
	v_fma_f64 v[38:39], -v[28:29], v[32:33], 1.0
	v_fmac_f64_e32 v[30:31], v[30:31], v[36:37]
	v_div_scale_f64 v[34:35], s[2:3], v[20:21], v[14:15], v[20:21]
	v_fmac_f64_e32 v[32:33], v[32:33], v[38:39]
	v_mul_f64 v[36:37], v[22:23], v[30:31]
	v_mul_f64 v[38:39], v[34:35], v[32:33]
	v_fma_f64 v[12:13], -v[12:13], v[36:37], v[22:23]
	v_fma_f64 v[28:29], -v[28:29], v[38:39], v[34:35]
	v_div_fmas_f64 v[12:13], v[12:13], v[30:31], v[36:37]
	s_mov_b64 vcc, s[2:3]
	v_div_fixup_f64 v[22:23], v[12:13], v[14:15], v[10:11]
	v_div_fmas_f64 v[10:11], v[28:29], v[32:33], v[38:39]
	v_div_fixup_f64 v[12:13], v[10:11], v[14:15], v[20:21]
	v_mul_f64 v[10:11], v[18:19], v[12:13]
	v_cmp_eq_f64_e32 vcc, 0, v[22:23]
	s_and_b64 vcc, exec, vcc
	s_waitcnt vmcnt(0)
	v_add_f64 v[14:15], v[26:27], -v[8:9]
	v_fma_f64 v[14:15], v[22:23], v[14:15], -v[10:11]
	v_add_f64 v[10:11], v[26:27], -v[14:15]
	v_add_f64 v[10:11], v[18:19], v[10:11]
	global_store_dwordx2 v2, v[10:11], s[46:47] offset:-8
	s_cbranch_vccz .LBB2_117
; %bb.113:                              ;   in Loop: Header=BB2_112 Depth=3
	v_mul_f64 v[10:11], v[16:17], v[20:21]
	s_cbranch_execnz .LBB2_115
.LBB2_114:                              ;   in Loop: Header=BB2_112 Depth=3
	v_mul_f64 v[10:11], v[14:15], v[14:15]
	v_div_scale_f64 v[16:17], s[2:3], v[22:23], v[22:23], v[10:11]
	v_rcp_f64_e32 v[18:19], v[16:17]
	v_div_scale_f64 v[20:21], vcc, v[10:11], v[22:23], v[10:11]
	v_fma_f64 v[26:27], -v[16:17], v[18:19], 1.0
	v_fmac_f64_e32 v[18:19], v[18:19], v[26:27]
	v_fma_f64 v[26:27], -v[16:17], v[18:19], 1.0
	v_fmac_f64_e32 v[18:19], v[18:19], v[26:27]
	v_mul_f64 v[26:27], v[20:21], v[18:19]
	v_fma_f64 v[16:17], -v[16:17], v[26:27], v[20:21]
	v_div_fmas_f64 v[16:17], v[16:17], v[18:19], v[26:27]
	v_div_fixup_f64 v[10:11], v[16:17], v[22:23], v[10:11]
.LBB2_115:                              ;   in Loop: Header=BB2_112 Depth=3
	s_add_i32 s35, s35, 1
	s_add_i32 s2, s38, s35
	s_add_u32 s44, s44, 8
	s_addc_u32 s45, s45, 0
	s_add_u32 s46, s46, 8
	s_addc_u32 s47, s47, 0
	s_cmp_ge_i32 s2, s34
	s_cbranch_scc1 .LBB2_121
; %bb.116:                              ;   in Loop: Header=BB2_112 Depth=3
	v_pk_mov_b32 v[16:17], v[22:23], v[22:23] op_sel:[0,1]
	v_pk_mov_b32 v[18:19], v[14:15], v[14:15] op_sel:[0,1]
	global_load_dwordx2 v[20:21], v2, s[44:45]
	s_cmp_eq_u32 s35, 0
	s_waitcnt vmcnt(0)
	v_add_f64 v[14:15], v[10:11], v[20:21]
	s_cbranch_scc0 .LBB2_111
	s_branch .LBB2_112
.LBB2_117:                              ;   in Loop: Header=BB2_112 Depth=3
                                        ; implicit-def: $vgpr10_vgpr11
	s_branch .LBB2_114
.LBB2_118:                              ;   in Loop: Header=BB2_97 Depth=2
                                        ; implicit-def: $sgpr2
	s_cbranch_execz .LBB2_96
	s_branch .LBB2_142
.LBB2_119:                              ;   in Loop: Header=BB2_97 Depth=2
	s_mov_b64 s[42:43], 0
                                        ; implicit-def: $sgpr2
                                        ; implicit-def: $sgpr35
                                        ; implicit-def: $sgpr39
	s_cbranch_execnz .LBB2_124
	s_branch .LBB2_141
.LBB2_120:                              ;   in Loop: Header=BB2_97 Depth=2
	v_pk_mov_b32 v[14:15], v[18:19], v[18:19] op_sel:[0,1]
.LBB2_121:                              ;   in Loop: Header=BB2_97 Depth=2
	v_pk_mov_b32 v[16:17], v[10:11], v[10:11] op_sel:[0,1]
.LBB2_122:                              ;   in Loop: Header=BB2_97 Depth=2
	v_mul_f64 v[10:11], v[16:17], v[12:13]
	v_add_f64 v[8:9], v[8:9], v[14:15]
	s_add_i32 s39, s75, 1
	global_store_dwordx2 v2, v[10:11], s[42:43]
	global_store_dwordx2 v2, v[8:9], s[36:37]
	s_mov_b64 s[42:43], -1
.LBB2_123:                              ;   in Loop: Header=BB2_97 Depth=2
	s_mov_b32 s2, s58
	s_mov_b32 s35, s34
	s_and_b64 vcc, exec, s[40:41]
	s_cbranch_vccz .LBB2_141
.LBB2_124:                              ;   in Loop: Header=BB2_97 Depth=2
	s_ashr_i32 s39, s38, 31
	s_lshl_b64 s[38:39], s[38:39], 3
	s_add_u32 s2, s14, s38
	s_addc_u32 s3, s15, s39
	global_load_dwordx2 v[8:9], v2, s[2:3]
	s_waitcnt vmcnt(0)
	v_cmp_gt_f64_e32 vcc, s[24:25], v[8:9]
	s_and_b64 s[40:41], vcc, exec
	s_cselect_b32 s35, 0xffffff80, 0
	s_add_u32 s38, s56, s38
	s_addc_u32 s39, s57, s39
	global_load_dwordx2 v[10:11], v2, s[38:39]
	v_cndmask_b32_e64 v3, 0, 1, vcc
	v_lshlrev_b32_e32 v3, 8, v3
	v_ldexp_f64 v[8:9], v[8:9], v3
	v_rsq_f64_e32 v[12:13], v[8:9]
	v_cmp_class_f64_e32 vcc, v[8:9], v24
	v_mul_f64 v[14:15], v[8:9], v[12:13]
	v_mul_f64 v[12:13], v[12:13], 0.5
	v_fma_f64 v[16:17], -v[12:13], v[14:15], 0.5
	v_fmac_f64_e32 v[14:15], v[14:15], v[16:17]
	v_fmac_f64_e32 v[12:13], v[12:13], v[16:17]
	v_fma_f64 v[16:17], -v[14:15], v[14:15], v[8:9]
	v_fmac_f64_e32 v[14:15], v[16:17], v[12:13]
	v_fma_f64 v[16:17], -v[14:15], v[14:15], v[8:9]
	v_fmac_f64_e32 v[14:15], v[16:17], v[12:13]
	v_ldexp_f64 v[12:13], v[14:15], s35
	v_cndmask_b32_e32 v9, v13, v9, vcc
	v_cndmask_b32_e32 v8, v12, v8, vcc
	v_add_f64 v[16:17], v[8:9], v[8:9]
	s_waitcnt vmcnt(0)
	v_add_f64 v[14:15], v[6:7], -v[10:11]
	v_cmp_ngt_f64_e64 s[40:41], |v[14:15]|, |v[16:17]|
	s_and_b64 vcc, exec, s[40:41]
	s_cbranch_vccz .LBB2_127
; %bb.125:                              ;   in Loop: Header=BB2_97 Depth=2
	v_cmp_nlt_f64_e64 s[40:41], |v[14:15]|, |v[16:17]|
	s_and_b64 vcc, exec, s[40:41]
	s_cbranch_vccz .LBB2_128
; %bb.126:                              ;   in Loop: Header=BB2_97 Depth=2
	v_mul_f64 v[12:13], |v[16:17]|, s[26:27]
	s_cbranch_execz .LBB2_129
	s_branch .LBB2_130
.LBB2_127:                              ;   in Loop: Header=BB2_97 Depth=2
                                        ; implicit-def: $vgpr12_vgpr13
	s_branch .LBB2_131
.LBB2_128:                              ;   in Loop: Header=BB2_97 Depth=2
                                        ; implicit-def: $vgpr12_vgpr13
.LBB2_129:                              ;   in Loop: Header=BB2_97 Depth=2
	v_and_b32_e32 v13, 0x7fffffff, v15
	v_mov_b32_e32 v12, v14
	v_and_b32_e32 v19, 0x7fffffff, v17
	v_mov_b32_e32 v18, v16
	v_div_scale_f64 v[20:21], s[40:41], v[18:19], v[18:19], v[12:13]
	v_rcp_f64_e32 v[22:23], v[20:21]
	v_div_scale_f64 v[12:13], vcc, v[12:13], v[18:19], v[12:13]
	v_fma_f64 v[26:27], -v[20:21], v[22:23], 1.0
	v_fmac_f64_e32 v[22:23], v[22:23], v[26:27]
	v_fma_f64 v[26:27], -v[20:21], v[22:23], 1.0
	v_fmac_f64_e32 v[22:23], v[22:23], v[26:27]
	v_mul_f64 v[18:19], v[12:13], v[22:23]
	v_fma_f64 v[12:13], -v[20:21], v[18:19], v[12:13]
	v_div_fmas_f64 v[12:13], v[12:13], v[22:23], v[18:19]
	v_div_fixup_f64 v[12:13], v[12:13], |v[16:17]|, |v[14:15]|
	v_fma_f64 v[12:13], v[12:13], v[12:13], 1.0
	v_cmp_gt_f64_e32 vcc, s[24:25], v[12:13]
	v_cndmask_b32_e64 v3, 0, 1, vcc
	v_lshlrev_b32_e32 v3, 8, v3
	v_ldexp_f64 v[12:13], v[12:13], v3
	v_rsq_f64_e32 v[18:19], v[12:13]
	s_and_b64 s[40:41], vcc, exec
	s_cselect_b32 s35, 0xffffff80, 0
	v_cmp_class_f64_e32 vcc, v[12:13], v24
	v_mul_f64 v[20:21], v[12:13], v[18:19]
	v_mul_f64 v[18:19], v[18:19], 0.5
	v_fma_f64 v[22:23], -v[18:19], v[20:21], 0.5
	v_fmac_f64_e32 v[20:21], v[20:21], v[22:23]
	v_fma_f64 v[26:27], -v[20:21], v[20:21], v[12:13]
	v_fmac_f64_e32 v[18:19], v[18:19], v[22:23]
	v_fmac_f64_e32 v[20:21], v[26:27], v[18:19]
	v_fma_f64 v[22:23], -v[20:21], v[20:21], v[12:13]
	v_fmac_f64_e32 v[20:21], v[22:23], v[18:19]
	v_ldexp_f64 v[18:19], v[20:21], s35
	v_cndmask_b32_e32 v13, v19, v13, vcc
	v_cndmask_b32_e32 v12, v18, v12, vcc
	v_mul_f64 v[12:13], |v[16:17]|, v[12:13]
.LBB2_130:                              ;   in Loop: Header=BB2_97 Depth=2
	s_cbranch_execnz .LBB2_132
.LBB2_131:                              ;   in Loop: Header=BB2_97 Depth=2
	v_and_b32_e32 v13, 0x7fffffff, v17
	v_mov_b32_e32 v12, v16
	v_and_b32_e32 v19, 0x7fffffff, v15
	v_mov_b32_e32 v18, v14
	v_div_scale_f64 v[20:21], s[40:41], v[18:19], v[18:19], v[12:13]
	v_rcp_f64_e32 v[22:23], v[20:21]
	v_div_scale_f64 v[12:13], vcc, v[12:13], v[18:19], v[12:13]
	v_fma_f64 v[26:27], -v[20:21], v[22:23], 1.0
	v_fmac_f64_e32 v[22:23], v[22:23], v[26:27]
	v_fma_f64 v[26:27], -v[20:21], v[22:23], 1.0
	v_fmac_f64_e32 v[22:23], v[22:23], v[26:27]
	v_mul_f64 v[18:19], v[12:13], v[22:23]
	v_fma_f64 v[12:13], -v[20:21], v[18:19], v[12:13]
	v_div_fmas_f64 v[12:13], v[12:13], v[22:23], v[18:19]
	v_div_fixup_f64 v[12:13], v[12:13], |v[14:15]|, |v[16:17]|
	v_fma_f64 v[12:13], v[12:13], v[12:13], 1.0
	v_cmp_gt_f64_e32 vcc, s[24:25], v[12:13]
	v_cndmask_b32_e64 v3, 0, 1, vcc
	v_lshlrev_b32_e32 v3, 8, v3
	v_ldexp_f64 v[12:13], v[12:13], v3
	v_rsq_f64_e32 v[16:17], v[12:13]
	s_and_b64 s[40:41], vcc, exec
	s_cselect_b32 s35, 0xffffff80, 0
	v_cmp_class_f64_e32 vcc, v[12:13], v24
	v_mul_f64 v[18:19], v[12:13], v[16:17]
	v_mul_f64 v[16:17], v[16:17], 0.5
	v_fma_f64 v[20:21], -v[16:17], v[18:19], 0.5
	v_fmac_f64_e32 v[18:19], v[18:19], v[20:21]
	v_fma_f64 v[22:23], -v[18:19], v[18:19], v[12:13]
	v_fmac_f64_e32 v[16:17], v[16:17], v[20:21]
	v_fmac_f64_e32 v[18:19], v[22:23], v[16:17]
	v_fma_f64 v[20:21], -v[18:19], v[18:19], v[12:13]
	v_fmac_f64_e32 v[18:19], v[20:21], v[16:17]
	v_ldexp_f64 v[16:17], v[18:19], s35
	v_cndmask_b32_e32 v13, v17, v13, vcc
	v_cndmask_b32_e32 v12, v16, v12, vcc
	v_mul_f64 v[12:13], |v[14:15]|, v[12:13]
.LBB2_132:                              ;   in Loop: Header=BB2_97 Depth=2
	v_add_f64 v[16:17], v[6:7], v[10:11]
	v_cmp_gt_f64_e64 vcc, |v[6:7]|, |v[10:11]|
	v_cndmask_b32_e32 v15, v7, v11, vcc
	v_cndmask_b32_e32 v14, v6, v10, vcc
	v_cndmask_b32_e32 v7, v11, v7, vcc
	v_cndmask_b32_e32 v6, v10, v6, vcc
	v_cmp_ngt_f64_e32 vcc, 0, v[16:17]
	s_cbranch_vccz .LBB2_135
; %bb.133:                              ;   in Loop: Header=BB2_97 Depth=2
	v_cmp_nlt_f64_e32 vcc, 0, v[16:17]
	s_cbranch_vccz .LBB2_136
; %bb.134:                              ;   in Loop: Header=BB2_97 Depth=2
	v_mul_f64 v[10:11], v[12:13], 0.5
	v_mul_f64 v[18:19], v[12:13], -0.5
	s_cbranch_execz .LBB2_137
	s_branch .LBB2_138
.LBB2_135:                              ;   in Loop: Header=BB2_97 Depth=2
                                        ; implicit-def: $vgpr18_vgpr19
                                        ; implicit-def: $vgpr10_vgpr11
	s_branch .LBB2_139
.LBB2_136:                              ;   in Loop: Header=BB2_97 Depth=2
                                        ; implicit-def: $vgpr18_vgpr19
                                        ; implicit-def: $vgpr10_vgpr11
.LBB2_137:                              ;   in Loop: Header=BB2_97 Depth=2
	v_add_f64 v[10:11], v[16:17], v[12:13]
	v_mul_f64 v[10:11], v[10:11], 0.5
	v_div_scale_f64 v[18:19], s[40:41], v[10:11], v[10:11], v[6:7]
	v_rcp_f64_e32 v[20:21], v[18:19]
	v_div_scale_f64 v[22:23], vcc, v[6:7], v[10:11], v[6:7]
	v_fma_f64 v[26:27], -v[18:19], v[20:21], 1.0
	v_fmac_f64_e32 v[20:21], v[20:21], v[26:27]
	v_fma_f64 v[26:27], -v[18:19], v[20:21], 1.0
	v_fmac_f64_e32 v[20:21], v[20:21], v[26:27]
	v_mul_f64 v[26:27], v[22:23], v[20:21]
	v_fma_f64 v[18:19], -v[18:19], v[26:27], v[22:23]
	v_div_scale_f64 v[22:23], s[40:41], v[10:11], v[10:11], v[8:9]
	v_rcp_f64_e32 v[28:29], v[22:23]
	v_div_fmas_f64 v[18:19], v[18:19], v[20:21], v[26:27]
	v_div_fixup_f64 v[18:19], v[18:19], v[10:11], v[6:7]
	v_fma_f64 v[20:21], -v[22:23], v[28:29], 1.0
	v_fmac_f64_e32 v[28:29], v[28:29], v[20:21]
	v_fma_f64 v[20:21], -v[22:23], v[28:29], 1.0
	v_fmac_f64_e32 v[28:29], v[28:29], v[20:21]
	v_div_scale_f64 v[20:21], vcc, v[8:9], v[10:11], v[8:9]
	v_mul_f64 v[26:27], v[20:21], v[28:29]
	v_fma_f64 v[20:21], -v[22:23], v[26:27], v[20:21]
	s_nop 1
	v_div_fmas_f64 v[20:21], v[20:21], v[28:29], v[26:27]
	v_div_fixup_f64 v[20:21], v[20:21], v[10:11], v[8:9]
	v_mul_f64 v[20:21], v[8:9], v[20:21]
	v_fma_f64 v[18:19], v[14:15], v[18:19], -v[20:21]
.LBB2_138:                              ;   in Loop: Header=BB2_97 Depth=2
	s_cbranch_execnz .LBB2_140
.LBB2_139:                              ;   in Loop: Header=BB2_97 Depth=2
	v_add_f64 v[10:11], v[16:17], -v[12:13]
	v_mul_f64 v[10:11], v[10:11], 0.5
	v_div_scale_f64 v[12:13], s[40:41], v[10:11], v[10:11], v[6:7]
	v_rcp_f64_e32 v[16:17], v[12:13]
	v_div_scale_f64 v[18:19], vcc, v[6:7], v[10:11], v[6:7]
	v_fma_f64 v[20:21], -v[12:13], v[16:17], 1.0
	v_fmac_f64_e32 v[16:17], v[16:17], v[20:21]
	v_fma_f64 v[20:21], -v[12:13], v[16:17], 1.0
	v_fmac_f64_e32 v[16:17], v[16:17], v[20:21]
	v_mul_f64 v[20:21], v[18:19], v[16:17]
	v_fma_f64 v[12:13], -v[12:13], v[20:21], v[18:19]
	v_div_scale_f64 v[18:19], s[40:41], v[10:11], v[10:11], v[8:9]
	v_rcp_f64_e32 v[22:23], v[18:19]
	v_div_fmas_f64 v[12:13], v[12:13], v[16:17], v[20:21]
	v_div_fixup_f64 v[6:7], v[12:13], v[10:11], v[6:7]
	v_fma_f64 v[12:13], -v[18:19], v[22:23], 1.0
	v_fmac_f64_e32 v[22:23], v[22:23], v[12:13]
	v_fma_f64 v[12:13], -v[18:19], v[22:23], 1.0
	v_fmac_f64_e32 v[22:23], v[22:23], v[12:13]
	v_div_scale_f64 v[12:13], vcc, v[8:9], v[10:11], v[8:9]
	v_mul_f64 v[16:17], v[12:13], v[22:23]
	v_fma_f64 v[12:13], -v[18:19], v[16:17], v[12:13]
	s_nop 1
	v_div_fmas_f64 v[12:13], v[12:13], v[22:23], v[16:17]
	v_div_fixup_f64 v[12:13], v[12:13], v[10:11], v[8:9]
	v_mul_f64 v[8:9], v[8:9], v[12:13]
	v_fma_f64 v[18:19], v[14:15], v[6:7], -v[8:9]
.LBB2_140:                              ;   in Loop: Header=BB2_97 Depth=2
	global_store_dwordx2 v2, v[10:11], s[36:37]
	global_store_dwordx2 v2, v[18:19], s[38:39]
	v_mov_b32_e32 v3, v2
	s_add_i32 s35, s34, -2
	s_mov_b64 s[42:43], -1
	s_mov_b32 s39, s75
	global_store_dwordx2 v2, v[2:3], s[2:3]
                                        ; implicit-def: $sgpr2
.LBB2_141:                              ;   in Loop: Header=BB2_97 Depth=2
	s_mov_b32 s75, s39
	s_and_b64 vcc, exec, s[42:43]
	s_cbranch_vccz .LBB2_96
.LBB2_142:                              ;   in Loop: Header=BB2_97 Depth=2
	s_cmp_lt_i32 s35, s77
	s_cselect_b64 s[2:3], -1, 0
	s_cmp_ge_i32 s75, s58
	s_cselect_b64 s[8:9], -1, 0
	s_or_b64 s[8:9], s[2:3], s[8:9]
	s_mov_b32 s2, s75
	s_branch .LBB2_96
.LBB2_143:                              ;   in Loop: Header=BB2_4 Depth=1
	s_mov_b32 s75, s2
.LBB2_144:                              ;   in Loop: Header=BB2_4 Depth=1
	s_mov_b32 s37, s75
	v_cmp_lt_f64_e32 vcc, s[18:19], v[4:5]
	s_andn2_b64 vcc, exec, vcc
	s_cbranch_vccnz .LBB2_148
.LBB2_145:                              ;   in Loop: Header=BB2_4 Depth=1
	global_load_dwordx2 v[8:9], v2, s[30:31]
	s_waitcnt vmcnt(1)
	v_div_scale_f64 v[6:7], s[2:3], v[4:5], v[4:5], s[18:19]
	v_rcp_f64_e32 v[10:11], v[6:7]
	v_div_scale_f64 v[12:13], vcc, s[18:19], v[4:5], s[18:19]
	v_fma_f64 v[14:15], -v[6:7], v[10:11], 1.0
	v_fmac_f64_e32 v[10:11], v[10:11], v[14:15]
	v_fma_f64 v[14:15], -v[6:7], v[10:11], 1.0
	v_fmac_f64_e32 v[10:11], v[10:11], v[14:15]
	v_mul_f64 v[14:15], v[12:13], v[10:11]
	v_fma_f64 v[6:7], -v[6:7], v[14:15], v[12:13]
	v_div_fmas_f64 v[6:7], v[6:7], v[10:11], v[14:15]
	v_div_fixup_f64 v[6:7], v[6:7], v[4:5], s[18:19]
	s_and_b64 vcc, exec, s[0:1]
	s_waitcnt vmcnt(0)
	v_mul_f64 v[8:9], v[6:7], v[8:9]
	global_store_dwordx2 v2, v[8:9], s[30:31]
	s_cbranch_vccnz .LBB2_148
; %bb.146:                              ;   in Loop: Header=BB2_4 Depth=1
	s_add_u32 s2, s68, s28
	s_addc_u32 s3, s69, s29
	s_add_u32 s8, s64, s28
	s_addc_u32 s9, s65, s29
	s_mov_b32 s34, s76
.LBB2_147:                              ;   Parent Loop BB2_4 Depth=1
                                        ; =>  This Inner Loop Header: Depth=2
	global_load_dwordx2 v[8:9], v2, s[2:3]
	s_add_i32 s34, s34, 1
	s_waitcnt vmcnt(0)
	v_mul_f64 v[8:9], v[6:7], v[8:9]
	global_store_dwordx2 v2, v[8:9], s[2:3]
	global_load_dwordx2 v[8:9], v2, s[8:9]
	s_add_u32 s2, s2, 8
	s_addc_u32 s3, s3, 0
	s_waitcnt vmcnt(0)
	v_mul_f64 v[8:9], v[6:7], v[8:9]
	global_store_dwordx2 v2, v[8:9], s[8:9]
	s_add_u32 s8, s8, 8
	s_addc_u32 s9, s9, 0
	s_cmp_lt_i32 s34, s16
	s_cbranch_scc1 .LBB2_147
.LBB2_148:                              ;   in Loop: Header=BB2_4 Depth=1
	v_cmp_ngt_f64_e32 vcc, s[22:23], v[4:5]
	s_cbranch_vccnz .LBB2_2
; %bb.149:                              ;   in Loop: Header=BB2_4 Depth=1
	global_load_dwordx2 v[6:7], v2, s[30:31]
	v_div_scale_f64 v[8:9], s[2:3], v[4:5], v[4:5], s[22:23]
	v_rcp_f64_e32 v[10:11], v[8:9]
	v_div_scale_f64 v[12:13], vcc, s[22:23], v[4:5], s[22:23]
	v_fma_f64 v[14:15], -v[8:9], v[10:11], 1.0
	v_fmac_f64_e32 v[10:11], v[10:11], v[14:15]
	v_fma_f64 v[14:15], -v[8:9], v[10:11], 1.0
	v_fmac_f64_e32 v[10:11], v[10:11], v[14:15]
	v_mul_f64 v[14:15], v[12:13], v[10:11]
	v_fma_f64 v[8:9], -v[8:9], v[14:15], v[12:13]
	v_div_fmas_f64 v[8:9], v[8:9], v[10:11], v[14:15]
	v_div_fixup_f64 v[4:5], v[8:9], v[4:5], s[22:23]
	s_and_b64 vcc, exec, s[0:1]
	s_waitcnt vmcnt(0)
	v_mul_f64 v[6:7], v[4:5], v[6:7]
	global_store_dwordx2 v2, v[6:7], s[30:31]
	s_cbranch_vccnz .LBB2_2
; %bb.150:                              ;   in Loop: Header=BB2_4 Depth=1
	s_add_u32 s0, s68, s28
	s_addc_u32 s1, s69, s29
	s_add_u32 s2, s64, s28
	s_addc_u32 s3, s65, s29
.LBB2_151:                              ;   Parent Loop BB2_4 Depth=1
                                        ; =>  This Inner Loop Header: Depth=2
	global_load_dwordx2 v[6:7], v2, s[0:1]
	s_add_i32 s76, s76, 1
	s_waitcnt vmcnt(0)
	v_mul_f64 v[6:7], v[4:5], v[6:7]
	global_store_dwordx2 v2, v[6:7], s[0:1]
	global_load_dwordx2 v[6:7], v2, s[2:3]
	s_add_u32 s0, s0, 8
	s_addc_u32 s1, s1, 0
	s_waitcnt vmcnt(0)
	v_mul_f64 v[6:7], v[4:5], v[6:7]
	global_store_dwordx2 v2, v[6:7], s[2:3]
	s_add_u32 s2, s2, 8
	s_addc_u32 s3, s3, 0
	s_cmp_lt_i32 s76, s16
	s_cbranch_scc1 .LBB2_151
	s_branch .LBB2_2
.LBB2_152:
	s_cmp_lt_i32 s33, 2
	s_cbranch_scc1 .LBB2_163
; %bb.153:
	s_load_dwordx2 s[0:1], s[4:5], 0x28
	s_lshl_b64 s[4:5], s[6:7], 2
	s_mov_b32 s2, 1
	v_mov_b32_e32 v0, 0
	s_waitcnt lgkmcnt(0)
	s_add_u32 s0, s0, s4
	s_addc_u32 s1, s1, s5
	s_branch .LBB2_155
.LBB2_154:                              ;   in Loop: Header=BB2_155 Depth=1
	s_add_i32 s2, s2, 1
	s_add_u32 s14, s14, 8
	s_addc_u32 s15, s15, 0
	s_cmp_lg_u32 s33, s2
	s_cbranch_scc0 .LBB2_157
.LBB2_155:                              ; =>This Inner Loop Header: Depth=1
	global_load_dwordx2 v[2:3], v0, s[14:15]
	s_waitcnt vmcnt(0)
	v_cmp_eq_f64_e32 vcc, 0, v[2:3]
	s_cbranch_vccnz .LBB2_154
; %bb.156:                              ;   in Loop: Header=BB2_155 Depth=1
	global_load_dword v1, v0, s[0:1]
	s_waitcnt vmcnt(0)
	v_add_u32_e32 v1, 1, v1
	global_store_dword v0, v1, s[0:1]
	s_branch .LBB2_154
.LBB2_157:
	s_add_u32 s14, s56, -8
	s_addc_u32 s15, s57, -1
	s_add_u32 s0, s10, s12
	s_addc_u32 s1, s11, s13
	s_add_u32 s0, s0, 8
	s_addc_u32 s1, s1, 0
	s_mov_b32 s2, 1
	v_mov_b32_e32 v4, 0
	s_branch .LBB2_159
.LBB2_158:                              ;   in Loop: Header=BB2_159 Depth=1
	s_add_i32 s2, s2, 1
	s_add_u32 s0, s0, 8
	s_addc_u32 s1, s1, 0
	s_cmp_lg_u32 s2, s33
	s_cbranch_scc0 .LBB2_163
.LBB2_159:                              ; =>This Loop Header: Depth=1
                                        ;     Child Loop BB2_160 Depth 2
	s_ashr_i32 s3, s2, 31
	s_add_i32 s7, s2, -1
	s_lshl_b64 s[4:5], s[2:3], 3
	s_add_u32 s4, s14, s4
	s_addc_u32 s5, s15, s5
	global_load_dwordx2 v[0:1], v4, s[4:5]
	s_mov_b64 s[8:9], s[0:1]
	s_mov_b32 s3, s2
	s_mov_b32 s6, s7
	s_waitcnt vmcnt(0)
	v_pk_mov_b32 v[2:3], v[0:1], v[0:1] op_sel:[0,1]
.LBB2_160:                              ;   Parent Loop BB2_159 Depth=1
                                        ; =>  This Inner Loop Header: Depth=2
	global_load_dwordx2 v[6:7], v4, s[8:9]
	s_waitcnt vmcnt(0)
	v_cmp_lt_f64_e32 vcc, v[6:7], v[2:3]
	s_and_b64 s[10:11], vcc, exec
	s_cselect_b32 s6, s3, s6
	s_add_i32 s3, s3, 1
	s_add_u32 s8, s8, 8
	s_addc_u32 s9, s9, 0
	v_cndmask_b32_e32 v3, v3, v7, vcc
	s_cmp_ge_i32 s3, s33
	v_cndmask_b32_e32 v2, v2, v6, vcc
	s_cbranch_scc0 .LBB2_160
; %bb.161:                              ;   in Loop: Header=BB2_159 Depth=1
	s_cmp_lg_u32 s6, s7
	s_cbranch_scc0 .LBB2_158
; %bb.162:                              ;   in Loop: Header=BB2_159 Depth=1
	s_ashr_i32 s7, s6, 31
	s_lshl_b64 s[6:7], s[6:7], 3
	s_add_u32 s6, s56, s6
	s_addc_u32 s7, s57, s7
	global_store_dwordx2 v4, v[0:1], s[6:7]
	global_store_dwordx2 v4, v[2:3], s[4:5]
	s_branch .LBB2_158
.LBB2_163:
	s_endpgm
	.section	.rodata,"a",@progbits
	.p2align	6, 0x0
	.amdhsa_kernel _ZN9rocsolver6v33100L12sterf_kernelIdEEviPT_lS3_lPiS4_iS2_S2_S2_
		.amdhsa_group_segment_fixed_size 0
		.amdhsa_private_segment_fixed_size 0
		.amdhsa_kernarg_size 88
		.amdhsa_user_sgpr_count 6
		.amdhsa_user_sgpr_private_segment_buffer 1
		.amdhsa_user_sgpr_dispatch_ptr 0
		.amdhsa_user_sgpr_queue_ptr 0
		.amdhsa_user_sgpr_kernarg_segment_ptr 1
		.amdhsa_user_sgpr_dispatch_id 0
		.amdhsa_user_sgpr_flat_scratch_init 0
		.amdhsa_user_sgpr_kernarg_preload_length 0
		.amdhsa_user_sgpr_kernarg_preload_offset 0
		.amdhsa_user_sgpr_private_segment_size 0
		.amdhsa_uses_dynamic_stack 0
		.amdhsa_system_sgpr_private_segment_wavefront_offset 0
		.amdhsa_system_sgpr_workgroup_id_x 1
		.amdhsa_system_sgpr_workgroup_id_y 0
		.amdhsa_system_sgpr_workgroup_id_z 0
		.amdhsa_system_sgpr_workgroup_info 0
		.amdhsa_system_vgpr_workitem_id 0
		.amdhsa_next_free_vgpr 40
		.amdhsa_next_free_sgpr 78
		.amdhsa_accum_offset 40
		.amdhsa_reserve_vcc 1
		.amdhsa_reserve_flat_scratch 0
		.amdhsa_float_round_mode_32 0
		.amdhsa_float_round_mode_16_64 0
		.amdhsa_float_denorm_mode_32 3
		.amdhsa_float_denorm_mode_16_64 3
		.amdhsa_dx10_clamp 1
		.amdhsa_ieee_mode 1
		.amdhsa_fp16_overflow 0
		.amdhsa_tg_split 0
		.amdhsa_exception_fp_ieee_invalid_op 0
		.amdhsa_exception_fp_denorm_src 0
		.amdhsa_exception_fp_ieee_div_zero 0
		.amdhsa_exception_fp_ieee_overflow 0
		.amdhsa_exception_fp_ieee_underflow 0
		.amdhsa_exception_fp_ieee_inexact 0
		.amdhsa_exception_int_div_zero 0
	.end_amdhsa_kernel
	.section	.text._ZN9rocsolver6v33100L12sterf_kernelIdEEviPT_lS3_lPiS4_iS2_S2_S2_,"axG",@progbits,_ZN9rocsolver6v33100L12sterf_kernelIdEEviPT_lS3_lPiS4_iS2_S2_S2_,comdat
.Lfunc_end2:
	.size	_ZN9rocsolver6v33100L12sterf_kernelIdEEviPT_lS3_lPiS4_iS2_S2_S2_, .Lfunc_end2-_ZN9rocsolver6v33100L12sterf_kernelIdEEviPT_lS3_lPiS4_iS2_S2_S2_
                                        ; -- End function
	.section	.AMDGPU.csdata,"",@progbits
; Kernel info:
; codeLenInByte = 8404
; NumSgprs: 82
; NumVgprs: 40
; NumAgprs: 0
; TotalNumVgprs: 40
; ScratchSize: 0
; MemoryBound: 0
; FloatMode: 240
; IeeeMode: 1
; LDSByteSize: 0 bytes/workgroup (compile time only)
; SGPRBlocks: 10
; VGPRBlocks: 4
; NumSGPRsForWavesPerEU: 82
; NumVGPRsForWavesPerEU: 40
; AccumOffset: 40
; Occupancy: 8
; WaveLimiterHint : 0
; COMPUTE_PGM_RSRC2:SCRATCH_EN: 0
; COMPUTE_PGM_RSRC2:USER_SGPR: 6
; COMPUTE_PGM_RSRC2:TRAP_HANDLER: 0
; COMPUTE_PGM_RSRC2:TGID_X_EN: 1
; COMPUTE_PGM_RSRC2:TGID_Y_EN: 0
; COMPUTE_PGM_RSRC2:TGID_Z_EN: 0
; COMPUTE_PGM_RSRC2:TIDIG_COMP_CNT: 0
; COMPUTE_PGM_RSRC3_GFX90A:ACCUM_OFFSET: 9
; COMPUTE_PGM_RSRC3_GFX90A:TG_SPLIT: 0
	.text
	.p2alignl 6, 3212836864
	.fill 256, 4, 3212836864
	.type	__hip_cuid_bbaeda99a1320859,@object ; @__hip_cuid_bbaeda99a1320859
	.section	.bss,"aw",@nobits
	.globl	__hip_cuid_bbaeda99a1320859
__hip_cuid_bbaeda99a1320859:
	.byte	0                               ; 0x0
	.size	__hip_cuid_bbaeda99a1320859, 1

	.ident	"AMD clang version 19.0.0git (https://github.com/RadeonOpenCompute/llvm-project roc-6.4.0 25133 c7fe45cf4b819c5991fe208aaa96edf142730f1d)"
	.section	".note.GNU-stack","",@progbits
	.addrsig
	.addrsig_sym __hip_cuid_bbaeda99a1320859
	.amdgpu_metadata
---
amdhsa.kernels:
  - .agpr_count:     0
    .args:
      - .address_space:  global
        .offset:         0
        .size:           8
        .value_kind:     global_buffer
      - .offset:         8
        .size:           4
        .value_kind:     by_value
      - .offset:         12
        .size:           4
        .value_kind:     by_value
      - .offset:         16
        .size:           4
        .value_kind:     by_value
      - .offset:         24
        .size:           4
        .value_kind:     hidden_block_count_x
      - .offset:         28
        .size:           4
        .value_kind:     hidden_block_count_y
      - .offset:         32
        .size:           4
        .value_kind:     hidden_block_count_z
      - .offset:         36
        .size:           2
        .value_kind:     hidden_group_size_x
      - .offset:         38
        .size:           2
        .value_kind:     hidden_group_size_y
      - .offset:         40
        .size:           2
        .value_kind:     hidden_group_size_z
      - .offset:         42
        .size:           2
        .value_kind:     hidden_remainder_x
      - .offset:         44
        .size:           2
        .value_kind:     hidden_remainder_y
      - .offset:         46
        .size:           2
        .value_kind:     hidden_remainder_z
      - .offset:         64
        .size:           8
        .value_kind:     hidden_global_offset_x
      - .offset:         72
        .size:           8
        .value_kind:     hidden_global_offset_y
      - .offset:         80
        .size:           8
        .value_kind:     hidden_global_offset_z
      - .offset:         88
        .size:           2
        .value_kind:     hidden_grid_dims
    .group_segment_fixed_size: 0
    .kernarg_segment_align: 8
    .kernarg_segment_size: 280
    .language:       OpenCL C
    .language_version:
      - 2
      - 0
    .max_flat_workgroup_size: 1024
    .name:           _ZN9rocsolver6v33100L10reset_infoIiiiEEvPT_T0_T1_S4_
    .private_segment_fixed_size: 0
    .sgpr_count:     12
    .sgpr_spill_count: 0
    .symbol:         _ZN9rocsolver6v33100L10reset_infoIiiiEEvPT_T0_T1_S4_.kd
    .uniform_work_group_size: 1
    .uses_dynamic_stack: false
    .vgpr_count:     4
    .vgpr_spill_count: 0
    .wavefront_size: 64
  - .agpr_count:     0
    .args:
      - .offset:         0
        .size:           4
        .value_kind:     by_value
      - .address_space:  global
        .offset:         8
        .size:           8
        .value_kind:     global_buffer
      - .offset:         16
        .size:           8
        .value_kind:     by_value
      - .address_space:  global
        .offset:         24
        .size:           8
        .value_kind:     global_buffer
      - .offset:         32
        .size:           8
        .value_kind:     by_value
      - .address_space:  global
        .offset:         40
        .size:           8
        .value_kind:     global_buffer
      - .address_space:  global
        .offset:         48
        .size:           8
        .value_kind:     global_buffer
      - .offset:         56
        .size:           4
        .value_kind:     by_value
      - .offset:         60
        .size:           4
        .value_kind:     by_value
      - .offset:         64
        .size:           4
        .value_kind:     by_value
      - .offset:         68
        .size:           4
        .value_kind:     by_value
    .group_segment_fixed_size: 0
    .kernarg_segment_align: 8
    .kernarg_segment_size: 72
    .language:       OpenCL C
    .language_version:
      - 2
      - 0
    .max_flat_workgroup_size: 1024
    .name:           _ZN9rocsolver6v33100L12sterf_kernelIfEEviPT_lS3_lPiS4_iS2_S2_S2_
    .private_segment_fixed_size: 0
    .sgpr_count:     80
    .sgpr_spill_count: 0
    .symbol:         _ZN9rocsolver6v33100L12sterf_kernelIfEEviPT_lS3_lPiS4_iS2_S2_S2_.kd
    .uniform_work_group_size: 1
    .uses_dynamic_stack: false
    .vgpr_count:     28
    .vgpr_spill_count: 0
    .wavefront_size: 64
  - .agpr_count:     0
    .args:
      - .offset:         0
        .size:           4
        .value_kind:     by_value
      - .address_space:  global
        .offset:         8
        .size:           8
        .value_kind:     global_buffer
      - .offset:         16
        .size:           8
        .value_kind:     by_value
      - .address_space:  global
        .offset:         24
        .size:           8
        .value_kind:     global_buffer
      - .offset:         32
        .size:           8
        .value_kind:     by_value
      - .address_space:  global
        .offset:         40
        .size:           8
        .value_kind:     global_buffer
      - .address_space:  global
        .offset:         48
        .size:           8
        .value_kind:     global_buffer
      - .offset:         56
        .size:           4
        .value_kind:     by_value
      - .offset:         64
        .size:           8
        .value_kind:     by_value
      - .offset:         72
        .size:           8
        .value_kind:     by_value
      - .offset:         80
        .size:           8
        .value_kind:     by_value
    .group_segment_fixed_size: 0
    .kernarg_segment_align: 8
    .kernarg_segment_size: 88
    .language:       OpenCL C
    .language_version:
      - 2
      - 0
    .max_flat_workgroup_size: 1024
    .name:           _ZN9rocsolver6v33100L12sterf_kernelIdEEviPT_lS3_lPiS4_iS2_S2_S2_
    .private_segment_fixed_size: 0
    .sgpr_count:     82
    .sgpr_spill_count: 0
    .symbol:         _ZN9rocsolver6v33100L12sterf_kernelIdEEviPT_lS3_lPiS4_iS2_S2_S2_.kd
    .uniform_work_group_size: 1
    .uses_dynamic_stack: false
    .vgpr_count:     40
    .vgpr_spill_count: 0
    .wavefront_size: 64
amdhsa.target:   amdgcn-amd-amdhsa--gfx90a
amdhsa.version:
  - 1
  - 2
...

	.end_amdgpu_metadata
